;; amdgpu-corpus repo=ROCm/rocSOLVER kind=compiled arch=gfx1030 opt=O3
	.amdgcn_target "amdgcn-amd-amdhsa--gfx1030"
	.amdhsa_code_object_version 6
	.section	.text._ZN9rocsolver6v33100L10reset_infoIiiiEEvPT_T0_T1_S4_,"axG",@progbits,_ZN9rocsolver6v33100L10reset_infoIiiiEEvPT_T0_T1_S4_,comdat
	.globl	_ZN9rocsolver6v33100L10reset_infoIiiiEEvPT_T0_T1_S4_ ; -- Begin function _ZN9rocsolver6v33100L10reset_infoIiiiEEvPT_T0_T1_S4_
	.p2align	8
	.type	_ZN9rocsolver6v33100L10reset_infoIiiiEEvPT_T0_T1_S4_,@function
_ZN9rocsolver6v33100L10reset_infoIiiiEEvPT_T0_T1_S4_: ; @_ZN9rocsolver6v33100L10reset_infoIiiiEEvPT_T0_T1_S4_
; %bb.0:
	s_clause 0x1
	s_load_dword s7, s[4:5], 0x24
	s_load_dwordx4 s[0:3], s[4:5], 0x8
	s_waitcnt lgkmcnt(0)
	s_and_b32 s3, s7, 0xffff
	v_mad_u64_u32 v[0:1], null, s6, s3, v[0:1]
	v_cmp_gt_i32_e32 vcc_lo, s0, v0
	s_and_saveexec_b32 s0, vcc_lo
	s_cbranch_execz .LBB0_2
; %bb.1:
	s_load_dwordx2 s[4:5], s[4:5], 0x0
	v_ashrrev_i32_e32 v1, 31, v0
	s_mov_b32 s0, s1
	v_mad_u64_u32 v[3:4], null, v0, s2, s[0:1]
	v_lshlrev_b64 v[1:2], 2, v[0:1]
	s_waitcnt lgkmcnt(0)
	v_add_co_u32 v0, vcc_lo, s4, v1
	v_add_co_ci_u32_e64 v1, null, s5, v2, vcc_lo
	global_store_dword v[0:1], v3, off
.LBB0_2:
	s_endpgm
	.section	.rodata,"a",@progbits
	.p2align	6, 0x0
	.amdhsa_kernel _ZN9rocsolver6v33100L10reset_infoIiiiEEvPT_T0_T1_S4_
		.amdhsa_group_segment_fixed_size 0
		.amdhsa_private_segment_fixed_size 0
		.amdhsa_kernarg_size 280
		.amdhsa_user_sgpr_count 6
		.amdhsa_user_sgpr_private_segment_buffer 1
		.amdhsa_user_sgpr_dispatch_ptr 0
		.amdhsa_user_sgpr_queue_ptr 0
		.amdhsa_user_sgpr_kernarg_segment_ptr 1
		.amdhsa_user_sgpr_dispatch_id 0
		.amdhsa_user_sgpr_flat_scratch_init 0
		.amdhsa_user_sgpr_private_segment_size 0
		.amdhsa_wavefront_size32 1
		.amdhsa_uses_dynamic_stack 0
		.amdhsa_system_sgpr_private_segment_wavefront_offset 0
		.amdhsa_system_sgpr_workgroup_id_x 1
		.amdhsa_system_sgpr_workgroup_id_y 0
		.amdhsa_system_sgpr_workgroup_id_z 0
		.amdhsa_system_sgpr_workgroup_info 0
		.amdhsa_system_vgpr_workitem_id 0
		.amdhsa_next_free_vgpr 5
		.amdhsa_next_free_sgpr 8
		.amdhsa_reserve_vcc 1
		.amdhsa_reserve_flat_scratch 0
		.amdhsa_float_round_mode_32 0
		.amdhsa_float_round_mode_16_64 0
		.amdhsa_float_denorm_mode_32 3
		.amdhsa_float_denorm_mode_16_64 3
		.amdhsa_dx10_clamp 1
		.amdhsa_ieee_mode 1
		.amdhsa_fp16_overflow 0
		.amdhsa_workgroup_processor_mode 1
		.amdhsa_memory_ordered 1
		.amdhsa_forward_progress 1
		.amdhsa_shared_vgpr_count 0
		.amdhsa_exception_fp_ieee_invalid_op 0
		.amdhsa_exception_fp_denorm_src 0
		.amdhsa_exception_fp_ieee_div_zero 0
		.amdhsa_exception_fp_ieee_overflow 0
		.amdhsa_exception_fp_ieee_underflow 0
		.amdhsa_exception_fp_ieee_inexact 0
		.amdhsa_exception_int_div_zero 0
	.end_amdhsa_kernel
	.section	.text._ZN9rocsolver6v33100L10reset_infoIiiiEEvPT_T0_T1_S4_,"axG",@progbits,_ZN9rocsolver6v33100L10reset_infoIiiiEEvPT_T0_T1_S4_,comdat
.Lfunc_end0:
	.size	_ZN9rocsolver6v33100L10reset_infoIiiiEEvPT_T0_T1_S4_, .Lfunc_end0-_ZN9rocsolver6v33100L10reset_infoIiiiEEvPT_T0_T1_S4_
                                        ; -- End function
	.set _ZN9rocsolver6v33100L10reset_infoIiiiEEvPT_T0_T1_S4_.num_vgpr, 5
	.set _ZN9rocsolver6v33100L10reset_infoIiiiEEvPT_T0_T1_S4_.num_agpr, 0
	.set _ZN9rocsolver6v33100L10reset_infoIiiiEEvPT_T0_T1_S4_.numbered_sgpr, 8
	.set _ZN9rocsolver6v33100L10reset_infoIiiiEEvPT_T0_T1_S4_.num_named_barrier, 0
	.set _ZN9rocsolver6v33100L10reset_infoIiiiEEvPT_T0_T1_S4_.private_seg_size, 0
	.set _ZN9rocsolver6v33100L10reset_infoIiiiEEvPT_T0_T1_S4_.uses_vcc, 1
	.set _ZN9rocsolver6v33100L10reset_infoIiiiEEvPT_T0_T1_S4_.uses_flat_scratch, 0
	.set _ZN9rocsolver6v33100L10reset_infoIiiiEEvPT_T0_T1_S4_.has_dyn_sized_stack, 0
	.set _ZN9rocsolver6v33100L10reset_infoIiiiEEvPT_T0_T1_S4_.has_recursion, 0
	.set _ZN9rocsolver6v33100L10reset_infoIiiiEEvPT_T0_T1_S4_.has_indirect_call, 0
	.section	.AMDGPU.csdata,"",@progbits
; Kernel info:
; codeLenInByte = 116
; TotalNumSgprs: 10
; NumVgprs: 5
; ScratchSize: 0
; MemoryBound: 0
; FloatMode: 240
; IeeeMode: 1
; LDSByteSize: 0 bytes/workgroup (compile time only)
; SGPRBlocks: 0
; VGPRBlocks: 0
; NumSGPRsForWavesPerEU: 10
; NumVGPRsForWavesPerEU: 5
; Occupancy: 16
; WaveLimiterHint : 0
; COMPUTE_PGM_RSRC2:SCRATCH_EN: 0
; COMPUTE_PGM_RSRC2:USER_SGPR: 6
; COMPUTE_PGM_RSRC2:TRAP_HANDLER: 0
; COMPUTE_PGM_RSRC2:TGID_X_EN: 1
; COMPUTE_PGM_RSRC2:TGID_Y_EN: 0
; COMPUTE_PGM_RSRC2:TGID_Z_EN: 0
; COMPUTE_PGM_RSRC2:TIDIG_COMP_CNT: 0
	.section	.text._ZN9rocsolver6v33100L10reset_infoIfiiEEvPT_T0_T1_S4_,"axG",@progbits,_ZN9rocsolver6v33100L10reset_infoIfiiEEvPT_T0_T1_S4_,comdat
	.globl	_ZN9rocsolver6v33100L10reset_infoIfiiEEvPT_T0_T1_S4_ ; -- Begin function _ZN9rocsolver6v33100L10reset_infoIfiiEEvPT_T0_T1_S4_
	.p2align	8
	.type	_ZN9rocsolver6v33100L10reset_infoIfiiEEvPT_T0_T1_S4_,@function
_ZN9rocsolver6v33100L10reset_infoIfiiEEvPT_T0_T1_S4_: ; @_ZN9rocsolver6v33100L10reset_infoIfiiEEvPT_T0_T1_S4_
; %bb.0:
	s_clause 0x1
	s_load_dword s7, s[4:5], 0x24
	s_load_dwordx4 s[0:3], s[4:5], 0x8
	s_waitcnt lgkmcnt(0)
	s_and_b32 s3, s7, 0xffff
	v_mad_u64_u32 v[0:1], null, s6, s3, v[0:1]
	v_cmp_gt_i32_e32 vcc_lo, s0, v0
	s_and_saveexec_b32 s0, vcc_lo
	s_cbranch_execz .LBB1_2
; %bb.1:
	s_load_dwordx2 s[4:5], s[4:5], 0x0
	v_mul_lo_u32 v2, v0, s2
	v_ashrrev_i32_e32 v1, 31, v0
	v_cvt_f32_i32_e32 v3, s1
	v_lshlrev_b64 v[0:1], 2, v[0:1]
	v_cvt_f32_i32_e32 v2, v2
	v_add_f32_e32 v2, v3, v2
	s_waitcnt lgkmcnt(0)
	v_add_co_u32 v0, vcc_lo, s4, v0
	v_add_co_ci_u32_e64 v1, null, s5, v1, vcc_lo
	global_store_dword v[0:1], v2, off
.LBB1_2:
	s_endpgm
	.section	.rodata,"a",@progbits
	.p2align	6, 0x0
	.amdhsa_kernel _ZN9rocsolver6v33100L10reset_infoIfiiEEvPT_T0_T1_S4_
		.amdhsa_group_segment_fixed_size 0
		.amdhsa_private_segment_fixed_size 0
		.amdhsa_kernarg_size 280
		.amdhsa_user_sgpr_count 6
		.amdhsa_user_sgpr_private_segment_buffer 1
		.amdhsa_user_sgpr_dispatch_ptr 0
		.amdhsa_user_sgpr_queue_ptr 0
		.amdhsa_user_sgpr_kernarg_segment_ptr 1
		.amdhsa_user_sgpr_dispatch_id 0
		.amdhsa_user_sgpr_flat_scratch_init 0
		.amdhsa_user_sgpr_private_segment_size 0
		.amdhsa_wavefront_size32 1
		.amdhsa_uses_dynamic_stack 0
		.amdhsa_system_sgpr_private_segment_wavefront_offset 0
		.amdhsa_system_sgpr_workgroup_id_x 1
		.amdhsa_system_sgpr_workgroup_id_y 0
		.amdhsa_system_sgpr_workgroup_id_z 0
		.amdhsa_system_sgpr_workgroup_info 0
		.amdhsa_system_vgpr_workitem_id 0
		.amdhsa_next_free_vgpr 4
		.amdhsa_next_free_sgpr 8
		.amdhsa_reserve_vcc 1
		.amdhsa_reserve_flat_scratch 0
		.amdhsa_float_round_mode_32 0
		.amdhsa_float_round_mode_16_64 0
		.amdhsa_float_denorm_mode_32 3
		.amdhsa_float_denorm_mode_16_64 3
		.amdhsa_dx10_clamp 1
		.amdhsa_ieee_mode 1
		.amdhsa_fp16_overflow 0
		.amdhsa_workgroup_processor_mode 1
		.amdhsa_memory_ordered 1
		.amdhsa_forward_progress 1
		.amdhsa_shared_vgpr_count 0
		.amdhsa_exception_fp_ieee_invalid_op 0
		.amdhsa_exception_fp_denorm_src 0
		.amdhsa_exception_fp_ieee_div_zero 0
		.amdhsa_exception_fp_ieee_overflow 0
		.amdhsa_exception_fp_ieee_underflow 0
		.amdhsa_exception_fp_ieee_inexact 0
		.amdhsa_exception_int_div_zero 0
	.end_amdhsa_kernel
	.section	.text._ZN9rocsolver6v33100L10reset_infoIfiiEEvPT_T0_T1_S4_,"axG",@progbits,_ZN9rocsolver6v33100L10reset_infoIfiiEEvPT_T0_T1_S4_,comdat
.Lfunc_end1:
	.size	_ZN9rocsolver6v33100L10reset_infoIfiiEEvPT_T0_T1_S4_, .Lfunc_end1-_ZN9rocsolver6v33100L10reset_infoIfiiEEvPT_T0_T1_S4_
                                        ; -- End function
	.set _ZN9rocsolver6v33100L10reset_infoIfiiEEvPT_T0_T1_S4_.num_vgpr, 4
	.set _ZN9rocsolver6v33100L10reset_infoIfiiEEvPT_T0_T1_S4_.num_agpr, 0
	.set _ZN9rocsolver6v33100L10reset_infoIfiiEEvPT_T0_T1_S4_.numbered_sgpr, 8
	.set _ZN9rocsolver6v33100L10reset_infoIfiiEEvPT_T0_T1_S4_.num_named_barrier, 0
	.set _ZN9rocsolver6v33100L10reset_infoIfiiEEvPT_T0_T1_S4_.private_seg_size, 0
	.set _ZN9rocsolver6v33100L10reset_infoIfiiEEvPT_T0_T1_S4_.uses_vcc, 1
	.set _ZN9rocsolver6v33100L10reset_infoIfiiEEvPT_T0_T1_S4_.uses_flat_scratch, 0
	.set _ZN9rocsolver6v33100L10reset_infoIfiiEEvPT_T0_T1_S4_.has_dyn_sized_stack, 0
	.set _ZN9rocsolver6v33100L10reset_infoIfiiEEvPT_T0_T1_S4_.has_recursion, 0
	.set _ZN9rocsolver6v33100L10reset_infoIfiiEEvPT_T0_T1_S4_.has_indirect_call, 0
	.section	.AMDGPU.csdata,"",@progbits
; Kernel info:
; codeLenInByte = 124
; TotalNumSgprs: 10
; NumVgprs: 4
; ScratchSize: 0
; MemoryBound: 0
; FloatMode: 240
; IeeeMode: 1
; LDSByteSize: 0 bytes/workgroup (compile time only)
; SGPRBlocks: 0
; VGPRBlocks: 0
; NumSGPRsForWavesPerEU: 10
; NumVGPRsForWavesPerEU: 4
; Occupancy: 16
; WaveLimiterHint : 0
; COMPUTE_PGM_RSRC2:SCRATCH_EN: 0
; COMPUTE_PGM_RSRC2:USER_SGPR: 6
; COMPUTE_PGM_RSRC2:TRAP_HANDLER: 0
; COMPUTE_PGM_RSRC2:TGID_X_EN: 1
; COMPUTE_PGM_RSRC2:TGID_Y_EN: 0
; COMPUTE_PGM_RSRC2:TGID_Z_EN: 0
; COMPUTE_PGM_RSRC2:TIDIG_COMP_CNT: 0
	.section	.text._ZN9rocsolver6v33100L8copy_matIfPfS2_NS0_7no_maskEEEviiT0_iilT1_iilT2_13rocblas_fill_17rocblas_diagonal_,"axG",@progbits,_ZN9rocsolver6v33100L8copy_matIfPfS2_NS0_7no_maskEEEviiT0_iilT1_iilT2_13rocblas_fill_17rocblas_diagonal_,comdat
	.globl	_ZN9rocsolver6v33100L8copy_matIfPfS2_NS0_7no_maskEEEviiT0_iilT1_iilT2_13rocblas_fill_17rocblas_diagonal_ ; -- Begin function _ZN9rocsolver6v33100L8copy_matIfPfS2_NS0_7no_maskEEEviiT0_iilT1_iilT2_13rocblas_fill_17rocblas_diagonal_
	.p2align	8
	.type	_ZN9rocsolver6v33100L8copy_matIfPfS2_NS0_7no_maskEEEviiT0_iilT1_iilT2_13rocblas_fill_17rocblas_diagonal_,@function
_ZN9rocsolver6v33100L8copy_matIfPfS2_NS0_7no_maskEEEviiT0_iilT1_iilT2_13rocblas_fill_17rocblas_diagonal_: ; @_ZN9rocsolver6v33100L8copy_matIfPfS2_NS0_7no_maskEEEviiT0_iilT1_iilT2_13rocblas_fill_17rocblas_diagonal_
; %bb.0:
	s_clause 0x1
	s_load_dword s2, s[4:5], 0x54
	s_load_dwordx2 s[0:1], s[4:5], 0x0
	s_waitcnt lgkmcnt(0)
	s_lshr_b32 s3, s2, 16
	s_and_b32 s2, s2, 0xffff
	v_mad_u64_u32 v[2:3], null, s6, s2, v[0:1]
	v_mad_u64_u32 v[0:1], null, s7, s3, v[1:2]
	v_cmp_gt_u32_e32 vcc_lo, s0, v2
	v_cmp_gt_u32_e64 s0, s1, v0
	s_and_b32 s0, s0, vcc_lo
	s_and_saveexec_b32 s1, s0
	s_cbranch_execz .LBB2_14
; %bb.1:
	s_load_dwordx2 s[2:3], s[4:5], 0x3c
	s_waitcnt lgkmcnt(0)
	s_cmpk_lt_i32 s2, 0x7a
	s_cbranch_scc1 .LBB2_4
; %bb.2:
	s_cmpk_gt_i32 s2, 0x7a
	s_cbranch_scc0 .LBB2_5
; %bb.3:
	s_cmpk_lg_i32 s2, 0x7b
	s_mov_b32 s1, -1
	s_cselect_b32 s6, -1, 0
	s_cbranch_execz .LBB2_6
	s_branch .LBB2_7
.LBB2_4:
	s_mov_b32 s6, 0
	s_mov_b32 s1, 0
	s_cbranch_execnz .LBB2_8
	s_branch .LBB2_10
.LBB2_5:
	s_mov_b32 s1, 0
	s_mov_b32 s6, 0
.LBB2_6:
	v_cmp_gt_u32_e32 vcc_lo, v2, v0
	v_cmp_le_u32_e64 s0, v2, v0
	s_andn2_b32 s1, s1, exec_lo
	s_andn2_b32 s6, s6, exec_lo
	s_and_b32 s7, vcc_lo, exec_lo
	s_and_b32 s0, s0, exec_lo
	s_or_b32 s1, s1, s7
	s_or_b32 s6, s6, s0
.LBB2_7:
	s_branch .LBB2_10
.LBB2_8:
	s_cmpk_eq_i32 s2, 0x79
	s_mov_b32 s6, -1
	s_cbranch_scc0 .LBB2_10
; %bb.9:
	v_cmp_gt_u32_e32 vcc_lo, v0, v2
	v_cmp_le_u32_e64 s0, v0, v2
	s_andn2_b32 s1, s1, exec_lo
	s_and_b32 s2, vcc_lo, exec_lo
	s_orn2_b32 s6, s0, exec_lo
	s_or_b32 s1, s1, s2
.LBB2_10:
	s_and_saveexec_b32 s0, s6
; %bb.11:
	v_cmp_eq_u32_e32 vcc_lo, v2, v0
	s_cmpk_eq_i32 s3, 0x83
	s_cselect_b32 s2, -1, 0
	s_andn2_b32 s1, s1, exec_lo
	s_and_b32 s2, s2, vcc_lo
	s_and_b32 s2, s2, exec_lo
	s_or_b32 s1, s1, s2
; %bb.12:
	s_or_b32 exec_lo, exec_lo, s0
	s_and_b32 exec_lo, exec_lo, s1
	s_cbranch_execz .LBB2_14
; %bb.13:
	s_load_dwordx8 s[12:19], s[4:5], 0x8
	s_waitcnt lgkmcnt(0)
	v_mad_u64_u32 v[3:4], null, v0, s15, v[2:3]
	s_mul_i32 s0, s17, s8
	s_mul_hi_u32 s3, s16, s8
	v_mov_b32_e32 v4, 0
	s_mul_i32 s2, s16, s8
	s_add_i32 s3, s3, s0
	s_ashr_i32 s1, s14, 31
	s_lshl_b64 s[2:3], s[2:3], 2
	s_mov_b32 s0, s14
	v_lshlrev_b64 v[5:6], 2, v[3:4]
	s_add_u32 s2, s12, s2
	s_addc_u32 s3, s13, s3
	s_lshl_b64 s[0:1], s[0:1], 2
	s_add_u32 s0, s2, s0
	s_addc_u32 s1, s3, s1
	v_add_co_u32 v5, vcc_lo, s0, v5
	v_add_co_ci_u32_e64 v6, null, s1, v6, vcc_lo
	s_load_dwordx4 s[0:3], s[4:5], 0x28
	global_load_dword v3, v[5:6], off
	s_waitcnt lgkmcnt(0)
	s_mul_i32 s3, s3, s8
	s_mul_hi_u32 s4, s2, s8
	s_mul_i32 s2, s2, s8
	s_add_i32 s3, s4, s3
	s_ashr_i32 s5, s0, 31
	s_lshl_b64 s[2:3], s[2:3], 2
	s_mov_b32 s4, s0
	s_add_u32 s2, s18, s2
	s_addc_u32 s3, s19, s3
	s_waitcnt vmcnt(0)
	v_mad_u64_u32 v[0:1], null, v0, s1, v[2:3]
	v_mov_b32_e32 v1, v4
	s_lshl_b64 s[0:1], s[4:5], 2
	s_add_u32 s0, s2, s0
	s_addc_u32 s1, s3, s1
	v_lshlrev_b64 v[0:1], 2, v[0:1]
	v_add_co_u32 v0, vcc_lo, s0, v0
	v_add_co_ci_u32_e64 v1, null, s1, v1, vcc_lo
	global_store_dword v[0:1], v3, off
.LBB2_14:
	s_endpgm
	.section	.rodata,"a",@progbits
	.p2align	6, 0x0
	.amdhsa_kernel _ZN9rocsolver6v33100L8copy_matIfPfS2_NS0_7no_maskEEEviiT0_iilT1_iilT2_13rocblas_fill_17rocblas_diagonal_
		.amdhsa_group_segment_fixed_size 0
		.amdhsa_private_segment_fixed_size 0
		.amdhsa_kernarg_size 328
		.amdhsa_user_sgpr_count 6
		.amdhsa_user_sgpr_private_segment_buffer 1
		.amdhsa_user_sgpr_dispatch_ptr 0
		.amdhsa_user_sgpr_queue_ptr 0
		.amdhsa_user_sgpr_kernarg_segment_ptr 1
		.amdhsa_user_sgpr_dispatch_id 0
		.amdhsa_user_sgpr_flat_scratch_init 0
		.amdhsa_user_sgpr_private_segment_size 0
		.amdhsa_wavefront_size32 1
		.amdhsa_uses_dynamic_stack 0
		.amdhsa_system_sgpr_private_segment_wavefront_offset 0
		.amdhsa_system_sgpr_workgroup_id_x 1
		.amdhsa_system_sgpr_workgroup_id_y 1
		.amdhsa_system_sgpr_workgroup_id_z 1
		.amdhsa_system_sgpr_workgroup_info 0
		.amdhsa_system_vgpr_workitem_id 1
		.amdhsa_next_free_vgpr 7
		.amdhsa_next_free_sgpr 20
		.amdhsa_reserve_vcc 1
		.amdhsa_reserve_flat_scratch 0
		.amdhsa_float_round_mode_32 0
		.amdhsa_float_round_mode_16_64 0
		.amdhsa_float_denorm_mode_32 3
		.amdhsa_float_denorm_mode_16_64 3
		.amdhsa_dx10_clamp 1
		.amdhsa_ieee_mode 1
		.amdhsa_fp16_overflow 0
		.amdhsa_workgroup_processor_mode 1
		.amdhsa_memory_ordered 1
		.amdhsa_forward_progress 1
		.amdhsa_shared_vgpr_count 0
		.amdhsa_exception_fp_ieee_invalid_op 0
		.amdhsa_exception_fp_denorm_src 0
		.amdhsa_exception_fp_ieee_div_zero 0
		.amdhsa_exception_fp_ieee_overflow 0
		.amdhsa_exception_fp_ieee_underflow 0
		.amdhsa_exception_fp_ieee_inexact 0
		.amdhsa_exception_int_div_zero 0
	.end_amdhsa_kernel
	.section	.text._ZN9rocsolver6v33100L8copy_matIfPfS2_NS0_7no_maskEEEviiT0_iilT1_iilT2_13rocblas_fill_17rocblas_diagonal_,"axG",@progbits,_ZN9rocsolver6v33100L8copy_matIfPfS2_NS0_7no_maskEEEviiT0_iilT1_iilT2_13rocblas_fill_17rocblas_diagonal_,comdat
.Lfunc_end2:
	.size	_ZN9rocsolver6v33100L8copy_matIfPfS2_NS0_7no_maskEEEviiT0_iilT1_iilT2_13rocblas_fill_17rocblas_diagonal_, .Lfunc_end2-_ZN9rocsolver6v33100L8copy_matIfPfS2_NS0_7no_maskEEEviiT0_iilT1_iilT2_13rocblas_fill_17rocblas_diagonal_
                                        ; -- End function
	.set _ZN9rocsolver6v33100L8copy_matIfPfS2_NS0_7no_maskEEEviiT0_iilT1_iilT2_13rocblas_fill_17rocblas_diagonal_.num_vgpr, 7
	.set _ZN9rocsolver6v33100L8copy_matIfPfS2_NS0_7no_maskEEEviiT0_iilT1_iilT2_13rocblas_fill_17rocblas_diagonal_.num_agpr, 0
	.set _ZN9rocsolver6v33100L8copy_matIfPfS2_NS0_7no_maskEEEviiT0_iilT1_iilT2_13rocblas_fill_17rocblas_diagonal_.numbered_sgpr, 20
	.set _ZN9rocsolver6v33100L8copy_matIfPfS2_NS0_7no_maskEEEviiT0_iilT1_iilT2_13rocblas_fill_17rocblas_diagonal_.num_named_barrier, 0
	.set _ZN9rocsolver6v33100L8copy_matIfPfS2_NS0_7no_maskEEEviiT0_iilT1_iilT2_13rocblas_fill_17rocblas_diagonal_.private_seg_size, 0
	.set _ZN9rocsolver6v33100L8copy_matIfPfS2_NS0_7no_maskEEEviiT0_iilT1_iilT2_13rocblas_fill_17rocblas_diagonal_.uses_vcc, 1
	.set _ZN9rocsolver6v33100L8copy_matIfPfS2_NS0_7no_maskEEEviiT0_iilT1_iilT2_13rocblas_fill_17rocblas_diagonal_.uses_flat_scratch, 0
	.set _ZN9rocsolver6v33100L8copy_matIfPfS2_NS0_7no_maskEEEviiT0_iilT1_iilT2_13rocblas_fill_17rocblas_diagonal_.has_dyn_sized_stack, 0
	.set _ZN9rocsolver6v33100L8copy_matIfPfS2_NS0_7no_maskEEEviiT0_iilT1_iilT2_13rocblas_fill_17rocblas_diagonal_.has_recursion, 0
	.set _ZN9rocsolver6v33100L8copy_matIfPfS2_NS0_7no_maskEEEviiT0_iilT1_iilT2_13rocblas_fill_17rocblas_diagonal_.has_indirect_call, 0
	.section	.AMDGPU.csdata,"",@progbits
; Kernel info:
; codeLenInByte = 488
; TotalNumSgprs: 22
; NumVgprs: 7
; ScratchSize: 0
; MemoryBound: 0
; FloatMode: 240
; IeeeMode: 1
; LDSByteSize: 0 bytes/workgroup (compile time only)
; SGPRBlocks: 0
; VGPRBlocks: 0
; NumSGPRsForWavesPerEU: 22
; NumVGPRsForWavesPerEU: 7
; Occupancy: 16
; WaveLimiterHint : 0
; COMPUTE_PGM_RSRC2:SCRATCH_EN: 0
; COMPUTE_PGM_RSRC2:USER_SGPR: 6
; COMPUTE_PGM_RSRC2:TRAP_HANDLER: 0
; COMPUTE_PGM_RSRC2:TGID_X_EN: 1
; COMPUTE_PGM_RSRC2:TGID_Y_EN: 1
; COMPUTE_PGM_RSRC2:TGID_Z_EN: 1
; COMPUTE_PGM_RSRC2:TIDIG_COMP_CNT: 1
	.section	.text._ZN9rocsolver6v33100L18stebz_case1_kernelIfPfEEv15rocblas_erange_T_S4_T0_ilPiS6_PS4_lS6_lS6_li,"axG",@progbits,_ZN9rocsolver6v33100L18stebz_case1_kernelIfPfEEv15rocblas_erange_T_S4_T0_ilPiS6_PS4_lS6_lS6_li,comdat
	.globl	_ZN9rocsolver6v33100L18stebz_case1_kernelIfPfEEv15rocblas_erange_T_S4_T0_ilPiS6_PS4_lS6_lS6_li ; -- Begin function _ZN9rocsolver6v33100L18stebz_case1_kernelIfPfEEv15rocblas_erange_T_S4_T0_ilPiS6_PS4_lS6_lS6_li
	.p2align	8
	.type	_ZN9rocsolver6v33100L18stebz_case1_kernelIfPfEEv15rocblas_erange_T_S4_T0_ilPiS6_PS4_lS6_lS6_li,@function
_ZN9rocsolver6v33100L18stebz_case1_kernelIfPfEEv15rocblas_erange_T_S4_T0_ilPiS6_PS4_lS6_lS6_li: ; @_ZN9rocsolver6v33100L18stebz_case1_kernelIfPfEEv15rocblas_erange_T_S4_T0_ilPiS6_PS4_lS6_lS6_li
; %bb.0:
	s_clause 0x1
	s_load_dword s0, s[4:5], 0x7c
	s_load_dword s1, s[4:5], 0x68
	s_waitcnt lgkmcnt(0)
	s_and_b32 s0, s0, 0xffff
	v_mad_u64_u32 v[0:1], null, s6, s0, v[0:1]
	s_mov_b32 s0, exec_lo
	v_cmpx_gt_i32_e64 s1, v0
	s_cbranch_execz .LBB3_7
; %bb.1:
	s_load_dwordx16 s[8:23], s[4:5], 0x20
	v_ashrrev_i32_e32 v1, 31, v0
	s_clause 0x1
	s_load_dwordx2 s[0:1], s[4:5], 0x10
	s_load_dword s2, s[4:5], 0x18
	v_mov_b32_e32 v9, 1
	s_waitcnt lgkmcnt(0)
	v_mul_lo_u32 v4, s9, v0
	v_mul_lo_u32 v5, s8, v1
	v_mad_u64_u32 v[2:3], null, s8, v0, 0
	s_ashr_i32 s3, s2, 31
	v_add3_u32 v3, v3, v5, v4
	v_lshlrev_b64 v[2:3], 2, v[2:3]
	v_add_co_u32 v2, vcc_lo, s0, v2
	v_add_co_ci_u32_e64 v3, null, s1, v3, vcc_lo
	s_lshl_b64 s[0:1], s[2:3], 2
	v_add_co_u32 v2, vcc_lo, v2, s0
	v_add_co_ci_u32_e64 v3, null, s1, v3, vcc_lo
	s_load_dwordx2 s[0:1], s[4:5], 0x60
	global_load_dword v4, v[2:3], off
	s_waitcnt lgkmcnt(0)
	v_mul_lo_u32 v2, s1, v0
	v_mul_lo_u32 v3, s0, v1
	v_mad_u64_u32 v[5:6], null, s0, v0, 0
	s_load_dwordx4 s[0:3], s[4:5], 0x0
	v_add3_u32 v6, v6, v3, v2
	v_lshlrev_b64 v[2:3], 2, v[0:1]
	v_lshlrev_b64 v[5:6], 2, v[5:6]
	v_add_co_u32 v7, vcc_lo, s12, v2
	v_add_co_ci_u32_e64 v8, null, s13, v3, vcc_lo
	v_add_co_u32 v5, vcc_lo, s22, v5
	v_add_co_ci_u32_e64 v6, null, s23, v6, vcc_lo
	s_waitcnt lgkmcnt(0)
	s_cmpk_lg_i32 s0, 0xe8
	global_store_dword v[7:8], v9, off
	s_cselect_b32 s3, -1, 0
	global_store_dword v[5:6], v9, off
	s_and_b32 vcc_lo, exec_lo, s3
	s_cbranch_vccnz .LBB3_3
; %bb.2:
	s_waitcnt vmcnt(0)
	v_cmp_nge_f32_e32 vcc_lo, s1, v4
	v_cmp_nlt_f32_e64 s0, s2, v4
	s_andn2_b32 s1, s3, exec_lo
	s_and_b32 s0, vcc_lo, s0
	s_and_b32 s2, s0, exec_lo
	s_mov_b32 s0, -1
	s_or_b32 s3, s1, s2
	s_and_saveexec_b32 s1, s3
	s_xor_b32 s1, exec_lo, s1
	s_cbranch_execnz .LBB3_4
	s_branch .LBB3_5
.LBB3_3:
	s_mov_b32 s0, 0
	s_and_saveexec_b32 s1, s3
	s_xor_b32 s1, exec_lo, s1
	s_cbranch_execz .LBB3_5
.LBB3_4:
	v_mul_lo_u32 v7, s17, v0
	v_mul_lo_u32 v8, s16, v1
	v_mad_u64_u32 v[5:6], null, s16, v0, 0
	v_mul_lo_u32 v9, s21, v0
	v_mul_lo_u32 v10, s20, v1
	v_mad_u64_u32 v[0:1], null, s20, v0, 0
	s_andn2_b32 s0, s0, exec_lo
	v_add3_u32 v6, v6, v8, v7
	v_add_co_u32 v7, vcc_lo, s10, v2
	v_add_co_ci_u32_e64 v8, null, s11, v3, vcc_lo
	v_add3_u32 v1, v1, v10, v9
	v_lshlrev_b64 v[5:6], 2, v[5:6]
	v_mov_b32_e32 v9, 1
	v_lshlrev_b64 v[0:1], 2, v[0:1]
	v_add_co_u32 v5, vcc_lo, s14, v5
	v_add_co_ci_u32_e64 v6, null, s15, v6, vcc_lo
	v_add_co_u32 v0, vcc_lo, s18, v0
	v_add_co_ci_u32_e64 v1, null, s19, v1, vcc_lo
	global_store_dword v[7:8], v9, off
	s_waitcnt vmcnt(0)
	global_store_dword v[5:6], v4, off
	global_store_dword v[0:1], v9, off
.LBB3_5:
	s_or_b32 exec_lo, exec_lo, s1
	s_and_b32 exec_lo, exec_lo, s0
	s_cbranch_execz .LBB3_7
; %bb.6:
	v_add_co_u32 v0, vcc_lo, s10, v2
	v_add_co_ci_u32_e64 v1, null, s11, v3, vcc_lo
	v_mov_b32_e32 v2, 0
	global_store_dword v[0:1], v2, off
.LBB3_7:
	s_endpgm
	.section	.rodata,"a",@progbits
	.p2align	6, 0x0
	.amdhsa_kernel _ZN9rocsolver6v33100L18stebz_case1_kernelIfPfEEv15rocblas_erange_T_S4_T0_ilPiS6_PS4_lS6_lS6_li
		.amdhsa_group_segment_fixed_size 0
		.amdhsa_private_segment_fixed_size 0
		.amdhsa_kernarg_size 368
		.amdhsa_user_sgpr_count 6
		.amdhsa_user_sgpr_private_segment_buffer 1
		.amdhsa_user_sgpr_dispatch_ptr 0
		.amdhsa_user_sgpr_queue_ptr 0
		.amdhsa_user_sgpr_kernarg_segment_ptr 1
		.amdhsa_user_sgpr_dispatch_id 0
		.amdhsa_user_sgpr_flat_scratch_init 0
		.amdhsa_user_sgpr_private_segment_size 0
		.amdhsa_wavefront_size32 1
		.amdhsa_uses_dynamic_stack 0
		.amdhsa_system_sgpr_private_segment_wavefront_offset 0
		.amdhsa_system_sgpr_workgroup_id_x 1
		.amdhsa_system_sgpr_workgroup_id_y 0
		.amdhsa_system_sgpr_workgroup_id_z 0
		.amdhsa_system_sgpr_workgroup_info 0
		.amdhsa_system_vgpr_workitem_id 0
		.amdhsa_next_free_vgpr 11
		.amdhsa_next_free_sgpr 24
		.amdhsa_reserve_vcc 1
		.amdhsa_reserve_flat_scratch 0
		.amdhsa_float_round_mode_32 0
		.amdhsa_float_round_mode_16_64 0
		.amdhsa_float_denorm_mode_32 3
		.amdhsa_float_denorm_mode_16_64 3
		.amdhsa_dx10_clamp 1
		.amdhsa_ieee_mode 1
		.amdhsa_fp16_overflow 0
		.amdhsa_workgroup_processor_mode 1
		.amdhsa_memory_ordered 1
		.amdhsa_forward_progress 1
		.amdhsa_shared_vgpr_count 0
		.amdhsa_exception_fp_ieee_invalid_op 0
		.amdhsa_exception_fp_denorm_src 0
		.amdhsa_exception_fp_ieee_div_zero 0
		.amdhsa_exception_fp_ieee_overflow 0
		.amdhsa_exception_fp_ieee_underflow 0
		.amdhsa_exception_fp_ieee_inexact 0
		.amdhsa_exception_int_div_zero 0
	.end_amdhsa_kernel
	.section	.text._ZN9rocsolver6v33100L18stebz_case1_kernelIfPfEEv15rocblas_erange_T_S4_T0_ilPiS6_PS4_lS6_lS6_li,"axG",@progbits,_ZN9rocsolver6v33100L18stebz_case1_kernelIfPfEEv15rocblas_erange_T_S4_T0_ilPiS6_PS4_lS6_lS6_li,comdat
.Lfunc_end3:
	.size	_ZN9rocsolver6v33100L18stebz_case1_kernelIfPfEEv15rocblas_erange_T_S4_T0_ilPiS6_PS4_lS6_lS6_li, .Lfunc_end3-_ZN9rocsolver6v33100L18stebz_case1_kernelIfPfEEv15rocblas_erange_T_S4_T0_ilPiS6_PS4_lS6_lS6_li
                                        ; -- End function
	.set _ZN9rocsolver6v33100L18stebz_case1_kernelIfPfEEv15rocblas_erange_T_S4_T0_ilPiS6_PS4_lS6_lS6_li.num_vgpr, 11
	.set _ZN9rocsolver6v33100L18stebz_case1_kernelIfPfEEv15rocblas_erange_T_S4_T0_ilPiS6_PS4_lS6_lS6_li.num_agpr, 0
	.set _ZN9rocsolver6v33100L18stebz_case1_kernelIfPfEEv15rocblas_erange_T_S4_T0_ilPiS6_PS4_lS6_lS6_li.numbered_sgpr, 24
	.set _ZN9rocsolver6v33100L18stebz_case1_kernelIfPfEEv15rocblas_erange_T_S4_T0_ilPiS6_PS4_lS6_lS6_li.num_named_barrier, 0
	.set _ZN9rocsolver6v33100L18stebz_case1_kernelIfPfEEv15rocblas_erange_T_S4_T0_ilPiS6_PS4_lS6_lS6_li.private_seg_size, 0
	.set _ZN9rocsolver6v33100L18stebz_case1_kernelIfPfEEv15rocblas_erange_T_S4_T0_ilPiS6_PS4_lS6_lS6_li.uses_vcc, 1
	.set _ZN9rocsolver6v33100L18stebz_case1_kernelIfPfEEv15rocblas_erange_T_S4_T0_ilPiS6_PS4_lS6_lS6_li.uses_flat_scratch, 0
	.set _ZN9rocsolver6v33100L18stebz_case1_kernelIfPfEEv15rocblas_erange_T_S4_T0_ilPiS6_PS4_lS6_lS6_li.has_dyn_sized_stack, 0
	.set _ZN9rocsolver6v33100L18stebz_case1_kernelIfPfEEv15rocblas_erange_T_S4_T0_ilPiS6_PS4_lS6_lS6_li.has_recursion, 0
	.set _ZN9rocsolver6v33100L18stebz_case1_kernelIfPfEEv15rocblas_erange_T_S4_T0_ilPiS6_PS4_lS6_lS6_li.has_indirect_call, 0
	.section	.AMDGPU.csdata,"",@progbits
; Kernel info:
; codeLenInByte = 596
; TotalNumSgprs: 26
; NumVgprs: 11
; ScratchSize: 0
; MemoryBound: 0
; FloatMode: 240
; IeeeMode: 1
; LDSByteSize: 0 bytes/workgroup (compile time only)
; SGPRBlocks: 0
; VGPRBlocks: 1
; NumSGPRsForWavesPerEU: 26
; NumVGPRsForWavesPerEU: 11
; Occupancy: 16
; WaveLimiterHint : 0
; COMPUTE_PGM_RSRC2:SCRATCH_EN: 0
; COMPUTE_PGM_RSRC2:USER_SGPR: 6
; COMPUTE_PGM_RSRC2:TRAP_HANDLER: 0
; COMPUTE_PGM_RSRC2:TGID_X_EN: 1
; COMPUTE_PGM_RSRC2:TGID_Y_EN: 0
; COMPUTE_PGM_RSRC2:TGID_Z_EN: 0
; COMPUTE_PGM_RSRC2:TIDIG_COMP_CNT: 0
	.section	.text._ZN9rocsolver6v33100L22stebz_splitting_kernelIfPfEEv15rocblas_erange_iT_S4_iiT0_iiS5_iiPiPS4_lS6_lS6_S7_S7_S7_S7_S6_S4_S4_,"axG",@progbits,_ZN9rocsolver6v33100L22stebz_splitting_kernelIfPfEEv15rocblas_erange_iT_S4_iiT0_iiS5_iiPiPS4_lS6_lS6_S7_S7_S7_S7_S6_S4_S4_,comdat
	.globl	_ZN9rocsolver6v33100L22stebz_splitting_kernelIfPfEEv15rocblas_erange_iT_S4_iiT0_iiS5_iiPiPS4_lS6_lS6_S7_S7_S7_S7_S6_S4_S4_ ; -- Begin function _ZN9rocsolver6v33100L22stebz_splitting_kernelIfPfEEv15rocblas_erange_iT_S4_iiT0_iiS5_iiPiPS4_lS6_lS6_S7_S7_S7_S7_S6_S4_S4_
	.p2align	8
	.type	_ZN9rocsolver6v33100L22stebz_splitting_kernelIfPfEEv15rocblas_erange_iT_S4_iiT0_iiS5_iiPiPS4_lS6_lS6_S7_S7_S7_S7_S6_S4_S4_,@function
_ZN9rocsolver6v33100L22stebz_splitting_kernelIfPfEEv15rocblas_erange_iT_S4_iiT0_iiS5_iiPiPS4_lS6_lS6_S7_S7_S7_S7_S6_S4_S4_: ; @_ZN9rocsolver6v33100L22stebz_splitting_kernelIfPfEEv15rocblas_erange_iT_S4_iiT0_iiS5_iiPiPS4_lS6_lS6_S7_S7_S7_S7_S6_S4_S4_
; %bb.0:
	s_clause 0x1
	s_load_dwordx4 s[24:27], s[4:5], 0x0
	s_load_dwordx2 s[34:35], s[4:5], 0x10
	v_lshlrev_b32_e32 v14, 2, v0
	v_mov_b32_e32 v5, 0
	v_add_nc_u32_e32 v15, -1, v0
	s_mov_b32 s6, s7
	s_waitcnt lgkmcnt(0)
	s_add_i32 s33, s25, -1
	s_ashr_i32 s0, s33, 31
	s_lshr_b32 s0, s0, 24
	s_add_i32 s0, s33, s0
	s_and_b32 s1, s0, 0xffffff00
	s_ashr_i32 s0, s0, 8
	s_sub_i32 s1, s33, s1
	v_cmp_gt_i32_e32 vcc_lo, s1, v0
	v_add_co_ci_u32_e64 v16, null, s0, 0, vcc_lo
	v_cmp_eq_u32_e64 s0, 0, v0
	v_cmp_ne_u32_e32 vcc_lo, 0, v0
	ds_write_b32 v14, v16
	s_waitcnt lgkmcnt(0)
	s_barrier
	buffer_gl0_inv
	s_and_saveexec_b32 s2, vcc_lo
	s_cbranch_execz .LBB4_10
; %bb.1:
	v_mov_b32_e32 v5, 0
	v_mov_b32_e32 v1, 0
	s_mov_b32 s3, exec_lo
	v_cmpx_lt_u32_e32 6, v15
	s_cbranch_execz .LBB4_5
; %bb.2:
	v_and_b32_e32 v1, 0xf8, v0
	v_mov_b32_e32 v5, 0
	s_mov_b32 s7, 0
	s_mov_b32 s8, 0
	;; [unrolled: 1-line block ×3, first 2 shown]
	.p2align	6
.LBB4_3:                                ; =>This Inner Loop Header: Depth=1
	v_mov_b32_e32 v2, s8
	s_add_i32 s9, s9, 8
	s_add_i32 s8, s8, 32
	v_cmp_eq_u32_e64 s1, s9, v1
	ds_read_b128 v[6:9], v2
	ds_read_b128 v[10:13], v2 offset:16
	s_or_b32 s7, s1, s7
	s_waitcnt lgkmcnt(1)
	v_add_nc_u32_e32 v2, v6, v5
	v_add_nc_u32_e32 v2, v7, v2
	;; [unrolled: 1-line block ×4, first 2 shown]
	s_waitcnt lgkmcnt(0)
	v_add_nc_u32_e32 v2, v10, v2
	v_add_nc_u32_e32 v2, v11, v2
	;; [unrolled: 1-line block ×4, first 2 shown]
	s_andn2_b32 exec_lo, exec_lo, s7
	s_cbranch_execnz .LBB4_3
; %bb.4:
	s_or_b32 exec_lo, exec_lo, s7
.LBB4_5:
	s_or_b32 exec_lo, exec_lo, s3
	v_and_b32_e32 v2, 7, v0
	s_mov_b32 s7, 0
	s_mov_b32 s3, exec_lo
	v_cmpx_ne_u32_e32 0, v2
	s_cbranch_execz .LBB4_9
; %bb.6:
	v_lshlrev_b32_e32 v1, 2, v1
.LBB4_7:                                ; =>This Inner Loop Header: Depth=1
	ds_read_b32 v3, v1
	v_add_nc_u32_e32 v2, -1, v2
	v_add_nc_u32_e32 v1, 4, v1
	v_cmp_eq_u32_e64 s1, 0, v2
	s_or_b32 s7, s1, s7
	s_waitcnt lgkmcnt(0)
	v_add_nc_u32_e32 v5, v3, v5
	s_andn2_b32 exec_lo, exec_lo, s7
	s_cbranch_execnz .LBB4_7
; %bb.8:
	s_or_b32 exec_lo, exec_lo, s7
.LBB4_9:
	s_or_b32 exec_lo, exec_lo, s3
.LBB4_10:
	s_or_b32 exec_lo, exec_lo, s2
	s_clause 0x2
	s_load_dwordx4 s[28:31], s[4:5], 0x18
	s_load_dwordx16 s[8:23], s[4:5], 0x38
	s_load_dwordx2 s[36:37], s[4:5], 0x90
	v_ashrrev_i32_e32 v6, 31, v5
	s_mul_i32 s2, s25, s6
	s_mul_i32 s38, s33, s6
	s_ashr_i32 s3, s2, 31
	s_ashr_i32 s7, s6, 31
	v_lshlrev_b64 v[12:13], 2, v[5:6]
	s_lshl_b64 s[2:3], s[2:3], 2
	s_ashr_i32 s39, s38, 31
	v_mov_b32_e32 v3, 0
	s_waitcnt lgkmcnt(0)
	s_ashr_i32 s41, s30, 31
	s_mov_b32 s40, s30
	s_mul_hi_u32 s1, s12, s6
	s_mul_i32 s30, s12, s7
	s_add_u32 s2, s18, s2
	s_addc_u32 s3, s19, s3
	s_add_i32 s18, s1, s30
	v_add_co_u32 v1, s1, s2, v12
	v_add_co_ci_u32_e64 v2, null, s3, v13, s1
	s_mul_i32 s13, s13, s6
	s_mul_hi_i32 s43, s31, s6
	s_mul_i32 s42, s31, s6
	s_add_i32 s19, s18, s13
	s_mul_i32 s18, s12, s6
	s_mov_b32 s3, exec_lo
	v_cmpx_lt_i32_e32 0, v16
	s_cbranch_execz .LBB4_16
; %bb.11:
	s_load_dwordx4 s[44:47], s[4:5], 0x28
	v_mov_b32_e32 v3, 0
	s_waitcnt lgkmcnt(0)
	s_ashr_i32 s13, s46, 31
	s_mul_hi_i32 s31, s6, s47
	s_mul_i32 s30, s6, s47
	s_mov_b32 s12, s46
	s_lshl_b64 s[30:31], s[30:31], 2
	s_lshl_b64 s[12:13], s[12:13], 2
	s_add_u32 s1, s30, s12
	s_addc_u32 s2, s31, s13
	s_add_u32 s1, s44, s1
	s_addc_u32 s2, s45, s2
	s_lshl_b64 s[12:13], s[42:43], 2
	s_lshl_b64 s[30:31], s[40:41], 2
	v_add_co_u32 v6, s1, s1, v12
	v_add_co_ci_u32_e64 v7, null, s2, v13, s1
	s_add_u32 s1, s12, s30
	s_addc_u32 s2, s13, s31
	s_add_u32 s1, s28, s1
	s_addc_u32 s2, s29, s2
	s_lshl_b64 s[12:13], s[38:39], 2
	v_add_co_u32 v8, s1, s1, v12
	v_add_co_ci_u32_e64 v9, null, s2, v13, s1
	s_add_u32 s1, s22, s12
	s_addc_u32 s2, s23, s13
	s_lshl_b64 s[12:13], s[18:19], 2
	v_add_co_u32 v10, s1, s1, v12
	v_add_co_ci_u32_e64 v11, null, s2, v13, s1
	s_add_u32 s1, s10, s12
	s_addc_u32 s2, s11, s13
	v_add_co_u32 v12, s1, s1, v12
	v_add_co_ci_u32_e64 v13, null, s2, v13, s1
	s_mov_b32 s12, 0
	s_branch .LBB4_13
.LBB4_12:                               ;   in Loop: Header=BB4_13 Depth=1
	s_or_b32 exec_lo, exec_lo, s2
	v_add_co_u32 v6, s1, v6, 4
	v_add_nc_u32_e32 v16, -1, v16
	v_add_co_ci_u32_e64 v7, null, 0, v7, s1
	v_add_co_u32 v8, s1, v8, 4
	global_store_dword v[10:11], v4, off
	global_store_dword v[12:13], v17, off
	v_add_co_ci_u32_e64 v9, null, 0, v9, s1
	v_add_co_u32 v10, s1, v10, 4
	v_add_co_ci_u32_e64 v11, null, 0, v11, s1
	v_cmp_eq_u32_e64 s1, 0, v16
	v_add_co_u32 v12, s2, v12, 4
	v_add_nc_u32_e32 v5, 1, v5
	v_add_co_ci_u32_e64 v13, null, 0, v13, s2
	s_or_b32 s12, s1, s12
	s_andn2_b32 exec_lo, exec_lo, s12
	s_cbranch_execz .LBB4_15
.LBB4_13:                               ; =>This Inner Loop Header: Depth=1
	global_load_dwordx2 v[18:19], v[8:9], off
	global_load_dword v17, v[6:7], off
	s_mov_b32 s2, exec_lo
	s_waitcnt vmcnt(1)
	v_mul_f32_e32 v4, v18, v19
	v_mul_f32_e64 v18, s36, |v4|
	s_waitcnt vmcnt(0)
	v_mul_f32_e32 v4, v17, v17
	v_fma_f32 v18, s36, v18, s37
	v_cmpx_gt_f32_e32 v18, v4
	s_cbranch_execz .LBB4_12
; %bb.14:                               ;   in Loop: Header=BB4_13 Depth=1
	v_ashrrev_i32_e32 v4, 31, v3
	v_lshlrev_b64 v[17:18], 2, v[3:4]
	v_add_nc_u32_e32 v3, 1, v3
	v_mov_b32_e32 v4, 0
	v_add_co_u32 v19, s1, v1, v17
	v_add_co_ci_u32_e64 v20, null, v2, v18, s1
	v_mov_b32_e32 v17, 0
	global_store_dword v[19:20], v5, off
	s_branch .LBB4_12
.LBB4_15:
	s_or_b32 exec_lo, exec_lo, s12
.LBB4_16:
	s_or_b32 exec_lo, exec_lo, s3
	v_mov_b32_e32 v4, 0
	ds_write_b32 v14, v3
	s_waitcnt lgkmcnt(0)
	s_waitcnt_vscnt null, 0x0
	s_barrier
	buffer_gl0_inv
	s_and_saveexec_b32 s1, vcc_lo
	s_cbranch_execz .LBB4_26
; %bb.17:
	v_mov_b32_e32 v4, 0
	v_mov_b32_e32 v5, 0
	s_mov_b32 s2, exec_lo
	v_cmpx_lt_u32_e32 6, v15
	s_cbranch_execz .LBB4_21
; %bb.18:
	v_and_b32_e32 v5, 0xf8, v0
	v_mov_b32_e32 v4, 0
	s_mov_b32 s3, 0
	s_mov_b32 s12, 0
	;; [unrolled: 1-line block ×3, first 2 shown]
	.p2align	6
.LBB4_19:                               ; =>This Inner Loop Header: Depth=1
	v_mov_b32_e32 v10, s12
	s_add_i32 s13, s13, 8
	s_add_i32 s12, s12, 32
	v_cmp_eq_u32_e32 vcc_lo, s13, v5
	ds_read_b128 v[6:9], v10
	ds_read_b128 v[10:13], v10 offset:16
	s_or_b32 s3, vcc_lo, s3
	s_waitcnt lgkmcnt(1)
	v_add_nc_u32_e32 v4, v6, v4
	v_add_nc_u32_e32 v4, v7, v4
	;; [unrolled: 1-line block ×4, first 2 shown]
	s_waitcnt lgkmcnt(0)
	v_add_nc_u32_e32 v4, v10, v4
	v_add_nc_u32_e32 v4, v11, v4
	v_add_nc_u32_e32 v4, v12, v4
	v_add_nc_u32_e32 v4, v13, v4
	s_andn2_b32 exec_lo, exec_lo, s3
	s_cbranch_execnz .LBB4_19
; %bb.20:
	s_or_b32 exec_lo, exec_lo, s3
.LBB4_21:
	s_or_b32 exec_lo, exec_lo, s2
	v_and_b32_e32 v6, 7, v0
	s_mov_b32 s3, 0
	s_mov_b32 s2, exec_lo
	v_cmpx_ne_u32_e32 0, v6
	s_cbranch_execz .LBB4_25
; %bb.22:
	v_lshlrev_b32_e32 v5, 2, v5
.LBB4_23:                               ; =>This Inner Loop Header: Depth=1
	ds_read_b32 v7, v5
	v_add_nc_u32_e32 v6, -1, v6
	v_add_nc_u32_e32 v5, 4, v5
	v_cmp_eq_u32_e32 vcc_lo, 0, v6
	s_or_b32 s3, vcc_lo, s3
	s_waitcnt lgkmcnt(0)
	v_add_nc_u32_e32 v4, v7, v4
	s_andn2_b32 exec_lo, exec_lo, s3
	s_cbranch_execnz .LBB4_23
; %bb.24:
	s_or_b32 exec_lo, exec_lo, s3
.LBB4_25:
	s_or_b32 exec_lo, exec_lo, s2
.LBB4_26:
	s_or_b32 exec_lo, exec_lo, s1
	s_mul_i32 s1, s16, s7
	s_mul_hi_u32 s2, s16, s6
	s_mov_b32 s13, 0
	s_add_i32 s1, s2, s1
	s_mul_i32 s2, s17, s6
	s_mov_b32 s12, exec_lo
	s_add_i32 s3, s1, s2
	s_mul_i32 s2, s16, s6
	v_cmpx_lt_i32_e32 0, v3
	s_cbranch_execz .LBB4_29
; %bb.27:
	v_ashrrev_i32_e32 v5, 31, v4
	s_lshl_b64 s[16:17], s[2:3], 2
	v_mov_b32_e32 v7, v3
	s_add_u32 s1, s14, s16
	s_addc_u32 s16, s15, s17
	v_lshlrev_b64 v[5:6], 2, v[4:5]
	v_add_co_u32 v5, vcc_lo, s1, v5
	v_add_co_ci_u32_e64 v6, null, s16, v6, vcc_lo
	.p2align	6
.LBB4_28:                               ; =>This Inner Loop Header: Depth=1
	global_load_dword v8, v[1:2], off
	v_add_nc_u32_e32 v7, -1, v7
	v_add_co_u32 v1, vcc_lo, v1, 4
	v_add_co_ci_u32_e64 v2, null, 0, v2, vcc_lo
	v_cmp_eq_u32_e32 vcc_lo, 0, v7
	s_or_b32 s13, vcc_lo, s13
	s_waitcnt vmcnt(0)
	v_add_nc_u32_e32 v8, 1, v8
	global_store_dword v[5:6], v8, off
	v_add_co_u32 v5, s1, v5, 4
	v_add_co_ci_u32_e64 v6, null, 0, v6, s1
	s_andn2_b32 exec_lo, exec_lo, s13
	s_cbranch_execnz .LBB4_28
.LBB4_29:
	s_or_b32 exec_lo, exec_lo, s12
	v_cmp_eq_u32_e64 s1, 0xff, v0
	s_and_saveexec_b32 s12, s1
	s_cbranch_execz .LBB4_31
; %bb.30:
	v_add_nc_u32_e32 v1, v4, v3
	s_lshl_b64 s[16:17], s[6:7], 2
	v_mov_b32_e32 v5, s25
	s_add_u32 s8, s8, s16
	s_addc_u32 s9, s9, s17
	v_ashrrev_i32_e32 v2, 31, v1
	s_lshl_b64 s[2:3], s[2:3], 2
	v_mov_b32_e32 v4, 0
	s_add_u32 s2, s14, s2
	s_addc_u32 s3, s15, s3
	v_lshlrev_b64 v[2:3], 2, v[1:2]
	v_add_nc_u32_e32 v1, 1, v1
	v_add_co_u32 v2, vcc_lo, s2, v2
	v_add_co_ci_u32_e64 v3, null, s3, v3, vcc_lo
	global_store_dword v[2:3], v5, off
	global_store_dword v4, v1, s[8:9]
.LBB4_31:
	s_or_b32 exec_lo, exec_lo, s12
	v_mov_b32_e32 v3, 0
	v_bfrev_b32_e32 v4, -2
	s_mov_b32 s3, exec_lo
	s_waitcnt_vscnt null, 0x0
	s_barrier
	buffer_gl0_inv
	v_cmpx_gt_i32_e64 s33, v0
	s_cbranch_execz .LBB4_35
; %bb.32:
	s_lshl_b64 s[8:9], s[38:39], 2
	v_mov_b32_e32 v3, 0
	s_add_u32 s2, s22, s8
	s_addc_u32 s8, s23, s9
	v_add_co_u32 v1, s2, s2, v14
	v_add_co_ci_u32_e64 v2, null, s8, 0, s2
	v_bfrev_b32_e32 v4, -2
	v_mov_b32_e32 v5, v0
	s_mov_b32 s8, 0
	.p2align	6
.LBB4_33:                               ; =>This Inner Loop Header: Depth=1
	global_load_dword v6, v[1:2], off
	v_cmp_eq_u32_e32 vcc_lo, 0x7fffffff, v4
	v_add_nc_u32_e32 v7, 1, v5
	v_add_nc_u32_e32 v5, 0x100, v5
	v_add_co_u32 v1, s2, 0x400, v1
	v_add_co_ci_u32_e64 v2, null, 0, v2, s2
	v_cmp_le_i32_e64 s2, s33, v5
	s_waitcnt vmcnt(0)
	v_cmp_lt_f32_e64 s9, v3, |v6|
	s_or_b32 vcc_lo, s9, vcc_lo
	s_or_b32 s8, s2, s8
	v_cndmask_b32_e64 v3, v3, |v6|, vcc_lo
	v_cndmask_b32_e32 v4, v4, v7, vcc_lo
	s_andn2_b32 exec_lo, exec_lo, s8
	s_cbranch_execnz .LBB4_33
; %bb.34:
	s_or_b32 exec_lo, exec_lo, s8
.LBB4_35:
	s_or_b32 exec_lo, exec_lo, s3
	s_cmp_lt_i32 s25, 3
	ds_write_b32 v14, v3 offset:1024
	ds_write_b32 v14, v4
	s_waitcnt lgkmcnt(0)
	s_barrier
	buffer_gl0_inv
	s_cbranch_scc1 .LBB4_72
; %bb.36:
	v_or_b32_e32 v1, 0x400, v14
	s_mov_b32 s3, exec_lo
	v_cmpx_gt_u32_e32 0x80, v0
	s_cbranch_execz .LBB4_42
; %bb.37:
	ds_read_b32 v2, v1 offset:512
	ds_read_b32 v5, v14 offset:512
	s_mov_b32 s9, exec_lo
	s_waitcnt lgkmcnt(1)
	v_cmp_lt_f32_e64 s8, v3, v2
	v_cmpx_nlt_f32_e32 v3, v2
	s_cbranch_execz .LBB4_39
; %bb.38:
	v_cmp_eq_f32_e32 vcc_lo, v3, v2
	s_waitcnt lgkmcnt(0)
	v_cmp_gt_i32_e64 s2, v4, v5
	s_andn2_b32 s8, s8, exec_lo
	s_and_b32 s2, vcc_lo, s2
	s_and_b32 s2, s2, exec_lo
	s_or_b32 s8, s8, s2
.LBB4_39:
	s_or_b32 exec_lo, exec_lo, s9
	s_and_saveexec_b32 s2, s8
	s_cbranch_execz .LBB4_41
; %bb.40:
	s_waitcnt lgkmcnt(0)
	v_mov_b32_e32 v4, v5
	v_mov_b32_e32 v3, v2
	ds_write_b32 v1, v2
	ds_write_b32 v14, v5
.LBB4_41:
	s_or_b32 exec_lo, exec_lo, s2
.LBB4_42:
	s_or_b32 exec_lo, exec_lo, s3
	s_mov_b32 s3, exec_lo
	s_waitcnt lgkmcnt(0)
	s_barrier
	buffer_gl0_inv
	v_cmpx_gt_u32_e32 64, v0
	s_cbranch_execz .LBB4_48
; %bb.43:
	ds_read_b32 v2, v1 offset:256
	ds_read_b32 v5, v14 offset:256
	s_mov_b32 s9, exec_lo
	s_waitcnt lgkmcnt(1)
	v_cmp_lt_f32_e64 s8, v3, v2
	v_cmpx_nlt_f32_e32 v3, v2
	s_cbranch_execz .LBB4_45
; %bb.44:
	v_cmp_eq_f32_e32 vcc_lo, v3, v2
	s_waitcnt lgkmcnt(0)
	v_cmp_gt_i32_e64 s2, v4, v5
	s_andn2_b32 s8, s8, exec_lo
	s_and_b32 s2, vcc_lo, s2
	s_and_b32 s2, s2, exec_lo
	s_or_b32 s8, s8, s2
.LBB4_45:
	s_or_b32 exec_lo, exec_lo, s9
	s_and_saveexec_b32 s2, s8
	s_cbranch_execz .LBB4_47
; %bb.46:
	s_waitcnt lgkmcnt(0)
	v_mov_b32_e32 v4, v5
	v_mov_b32_e32 v3, v2
	ds_write_b32 v1, v2
	ds_write_b32 v14, v5
.LBB4_47:
	s_or_b32 exec_lo, exec_lo, s2
.LBB4_48:
	s_or_b32 exec_lo, exec_lo, s3
	s_mov_b32 s8, exec_lo
	s_waitcnt lgkmcnt(0)
	s_barrier
	buffer_gl0_inv
	v_cmpx_gt_u32_e32 32, v0
	s_cbranch_execz .LBB4_71
; %bb.49:
	ds_read_b32 v2, v1 offset:128
	ds_read_b32 v5, v14 offset:128
	s_mov_b32 s9, exec_lo
	s_waitcnt lgkmcnt(1)
	v_cmp_lt_f32_e64 s3, v3, v2
	v_cmpx_nlt_f32_e32 v3, v2
	s_cbranch_execz .LBB4_51
; %bb.50:
	v_cmp_eq_f32_e32 vcc_lo, v3, v2
	s_waitcnt lgkmcnt(0)
	v_cmp_gt_i32_e64 s2, v4, v5
	s_andn2_b32 s3, s3, exec_lo
	s_and_b32 s2, vcc_lo, s2
	s_and_b32 s2, s2, exec_lo
	s_or_b32 s3, s3, s2
.LBB4_51:
	s_or_b32 exec_lo, exec_lo, s9
	s_and_saveexec_b32 s2, s3
	s_cbranch_execz .LBB4_53
; %bb.52:
	v_mov_b32_e32 v3, v2
	s_waitcnt lgkmcnt(0)
	v_mov_b32_e32 v4, v5
	ds_write_b32 v1, v2
	ds_write_b32 v14, v5
.LBB4_53:
	s_or_b32 exec_lo, exec_lo, s2
	ds_read_b32 v2, v1 offset:64
	s_waitcnt lgkmcnt(1)
	ds_read_b32 v5, v14 offset:64
	s_mov_b32 s9, exec_lo
	s_waitcnt lgkmcnt(1)
	v_cmp_lt_f32_e64 s3, v3, v2
	v_cmpx_nlt_f32_e32 v3, v2
	s_cbranch_execz .LBB4_55
; %bb.54:
	v_cmp_eq_f32_e32 vcc_lo, v3, v2
	s_waitcnt lgkmcnt(0)
	v_cmp_gt_i32_e64 s2, v4, v5
	s_andn2_b32 s3, s3, exec_lo
	s_and_b32 s2, vcc_lo, s2
	s_and_b32 s2, s2, exec_lo
	s_or_b32 s3, s3, s2
.LBB4_55:
	s_or_b32 exec_lo, exec_lo, s9
	s_and_saveexec_b32 s2, s3
	s_cbranch_execz .LBB4_57
; %bb.56:
	v_mov_b32_e32 v3, v2
	s_waitcnt lgkmcnt(0)
	v_mov_b32_e32 v4, v5
	ds_write_b32 v1, v2
	ds_write_b32 v14, v5
.LBB4_57:
	s_or_b32 exec_lo, exec_lo, s2
	ds_read_b32 v2, v1 offset:32
	s_waitcnt lgkmcnt(1)
	;; [unrolled: 28-line block ×5, first 2 shown]
	ds_read_b32 v5, v14 offset:4
	s_waitcnt lgkmcnt(1)
	v_cmp_eq_f32_e32 vcc_lo, v3, v2
	s_waitcnt lgkmcnt(0)
	v_cmp_gt_i32_e64 s2, v4, v5
	v_cmp_lt_f32_e64 s3, v3, v2
	s_and_b32 s2, vcc_lo, s2
	s_or_b32 s2, s3, s2
	s_and_b32 exec_lo, exec_lo, s2
	s_cbranch_execz .LBB4_71
; %bb.70:
	ds_write_b32 v1, v2
	ds_write_b32 v14, v5
.LBB4_71:
	s_or_b32 exec_lo, exec_lo, s8
.LBB4_72:
	v_mov_b32_e32 v1, 0
	s_waitcnt lgkmcnt(0)
	s_barrier
	buffer_gl0_inv
	v_mov_b32_e32 v2, s27
	ds_read_b32 v1, v1 offset:1024
	s_clause 0x1
	s_load_dwordx4 s[12:15], s[4:5], 0x78
	s_load_dwordx2 s[8:9], s[4:5], 0x88
	s_cmpk_lg_i32 s24, 0xe9
	s_mov_b32 s2, -1
	s_waitcnt lgkmcnt(0)
	v_mul_f32_e32 v1, s37, v1
	v_cmp_gt_f32_e32 vcc_lo, s37, v1
	v_cndmask_b32_e64 v6, v1, s37, vcc_lo
	v_mov_b32_e32 v1, s26
	s_cbranch_scc1 .LBB4_121
; %bb.73:
	s_lshl_b64 s[26:27], s[42:43], 2
	s_add_u32 s2, s28, s26
	s_addc_u32 s3, s29, s27
	s_lshl_b64 s[30:31], s[40:41], 2
	s_add_u32 s40, s2, s30
	s_addc_u32 s41, s3, s31
	;; [unrolled: 3-line block ×4, first 2 shown]
	s_lshl_b32 s10, s25, 1
	s_mul_i32 s2, s10, s6
	s_ashr_i32 s3, s2, 31
	s_lshl_b64 s[16:17], s[2:3], 2
	s_add_u32 s4, s14, s16
	s_addc_u32 s5, s15, s17
	s_add_u32 s18, s8, s16
	s_addc_u32 s19, s9, s17
	s_and_saveexec_b32 s11, s0
	s_cbranch_execz .LBB4_81
; %bb.74:
	v_mov_b32_e32 v5, 0
	s_cmp_gt_i32 s25, 1
	s_clause 0x1
	global_load_dword v4, v5, s[40:41]
	global_load_dword v2, v5, s[38:39]
	s_cselect_b32 s37, -1, 0
	s_cmp_lt_i32 s25, 2
	s_waitcnt vmcnt(0)
	v_sub_f32_e64 v1, v4, |v2|
	v_sub_f32_e32 v7, v4, v1
	v_cmp_le_f32_e32 vcc_lo, v7, v6
	v_cndmask_b32_e64 v3, 0, 1, vcc_lo
	s_cbranch_scc1 .LBB4_77
; %bb.75:
	v_cmp_gt_f32_e64 s42, v7, -v6
	s_mov_b64 s[2:3], s[22:23]
	s_mov_b32 s44, s33
	s_and_b32 s42, vcc_lo, s42
	v_cndmask_b32_e64 v7, v7, -v6, s42
	s_add_u32 s42, s26, s30
	s_addc_u32 s43, s27, s31
	s_add_u32 s42, s28, s42
	s_addc_u32 s43, s29, s43
	;; [unrolled: 2-line block ×3, first 2 shown]
	s_inst_prefetch 0x1
	.p2align	6
.LBB4_76:                               ; =>This Inner Loop Header: Depth=1
	s_clause 0x1
	global_load_dword v8, v5, s[2:3]
	global_load_dword v9, v5, s[42:43]
	s_add_i32 s44, s44, -1
	s_waitcnt vmcnt(1)
	v_div_scale_f32 v10, null, v7, v7, v8
	v_div_scale_f32 v13, vcc_lo, v8, v7, v8
	s_waitcnt vmcnt(0)
	v_sub_f32_e32 v9, v9, v1
	v_rcp_f32_e32 v11, v10
	v_fma_f32 v12, -v10, v11, 1.0
	v_fmac_f32_e32 v11, v12, v11
	v_mul_f32_e32 v12, v13, v11
	v_fma_f32 v14, -v10, v12, v13
	v_fmac_f32_e32 v12, v14, v11
	v_fma_f32 v10, -v10, v12, v13
	v_div_fmas_f32 v10, v10, v11, v12
	v_div_fixup_f32 v7, v10, v7, v8
	v_sub_f32_e32 v7, v9, v7
	v_cmp_le_f32_e32 vcc_lo, v7, v6
	v_cmp_gt_f32_e64 s45, v7, -v6
	v_add_co_ci_u32_e64 v3, null, 0, v3, vcc_lo
	s_and_b32 s45, vcc_lo, s45
	s_add_u32 s42, s42, 4
	v_cndmask_b32_e64 v7, v7, -v6, s45
	s_addc_u32 s43, s43, 0
	s_add_u32 s2, s2, 4
	s_addc_u32 s3, s3, 0
	s_cmp_lg_u32 s44, 0
	s_cbranch_scc1 .LBB4_76
.LBB4_77:
	s_inst_prefetch 0x2
	v_and_b32_e32 v2, 0x7fffffff, v2
	s_andn2_b32 vcc_lo, exec_lo, s37
	v_add_f32_e32 v2, v4, v2
	v_sub_f32_e32 v7, v4, v2
	v_cmp_le_f32_e64 s2, v7, v6
	v_cndmask_b32_e64 v4, 0, 1, s2
	s_cbranch_vccnz .LBB4_80
; %bb.78:
	v_cmp_gt_f32_e64 s3, v7, -v6
	v_mov_b32_e32 v5, 0
	s_mov_b64 s[42:43], s[22:23]
	s_mov_b32 s37, s33
	s_and_b32 s2, s2, s3
	v_cndmask_b32_e64 v7, v7, -v6, s2
	s_add_u32 s2, s26, s30
	s_addc_u32 s3, s27, s31
	s_add_u32 s2, s28, s2
	s_addc_u32 s3, s29, s3
	;; [unrolled: 2-line block ×3, first 2 shown]
	s_inst_prefetch 0x1
	.p2align	6
.LBB4_79:                               ; =>This Inner Loop Header: Depth=1
	s_clause 0x1
	global_load_dword v8, v5, s[42:43]
	global_load_dword v9, v5, s[2:3]
	s_add_i32 s37, s37, -1
	s_waitcnt vmcnt(1)
	v_div_scale_f32 v10, null, v7, v7, v8
	v_div_scale_f32 v13, vcc_lo, v8, v7, v8
	s_waitcnt vmcnt(0)
	v_sub_f32_e32 v9, v9, v2
	v_rcp_f32_e32 v11, v10
	v_fma_f32 v12, -v10, v11, 1.0
	v_fmac_f32_e32 v11, v12, v11
	v_mul_f32_e32 v12, v13, v11
	v_fma_f32 v14, -v10, v12, v13
	v_fmac_f32_e32 v12, v14, v11
	v_fma_f32 v10, -v10, v12, v13
	v_div_fmas_f32 v10, v10, v11, v12
	v_div_fixup_f32 v7, v10, v7, v8
	v_sub_f32_e32 v7, v9, v7
	v_cmp_le_f32_e32 vcc_lo, v7, v6
	v_cmp_gt_f32_e64 s44, v7, -v6
	v_add_co_ci_u32_e64 v4, null, 0, v4, vcc_lo
	s_and_b32 s44, vcc_lo, s44
	s_add_u32 s2, s2, 4
	v_cndmask_b32_e64 v7, v7, -v6, s44
	s_addc_u32 s3, s3, 0
	s_add_u32 s42, s42, 4
	s_addc_u32 s43, s43, 0
	s_cmp_lg_u32 s37, 0
	s_cbranch_scc1 .LBB4_79
.LBB4_80:
	s_inst_prefetch 0x2
	v_mov_b32_e32 v5, 0
	global_store_dwordx2 v5, v[1:2], s[4:5]
	global_store_dwordx2 v5, v[3:4], s[18:19]
.LBB4_81:
	s_or_b32 exec_lo, exec_lo, s11
	v_add_nc_u32_e32 v0, 1, v0
	s_mov_b32 s11, exec_lo
	v_cmpx_gt_i32_e64 s33, v0
	s_cbranch_execz .LBB4_88
; %bb.82:
	s_add_u32 s2, s26, s30
	s_addc_u32 s3, s27, s31
	s_add_u32 s2, s28, s2
	v_mov_b32_e32 v1, 0
	s_addc_u32 s3, s29, s3
	s_add_u32 s42, s2, 4
	s_addc_u32 s43, s3, 0
	s_mov_b32 s37, 0
.LBB4_83:                               ; =>This Loop Header: Depth=1
                                        ;     Child Loop BB4_84 Depth 2
                                        ;     Child Loop BB4_86 Depth 2
	v_lshlrev_b64 v[2:3], 2, v[0:1]
	s_mov_b32 s46, 1
	s_mov_b64 s[44:45], s[42:43]
	v_add_co_u32 v4, vcc_lo, s38, v2
	v_add_co_ci_u32_e64 v5, null, s39, v3, vcc_lo
	v_add_co_u32 v2, vcc_lo, s40, v2
	v_add_co_ci_u32_e64 v3, null, s41, v3, vcc_lo
	global_load_dwordx2 v[7:8], v[4:5], off offset:-4
	s_clause 0x1
	global_load_dword v3, v[2:3], off
	global_load_dword v5, v1, s[40:41]
	s_waitcnt vmcnt(2)
	v_add_f32_e64 v7, |v8|, |v7|
	s_waitcnt vmcnt(1)
	v_sub_f32_e32 v2, v3, v7
	s_waitcnt vmcnt(0)
	v_sub_f32_e32 v8, v5, v2
	v_cmp_gt_f32_e64 s2, v8, -v6
	v_cmp_le_f32_e32 vcc_lo, v8, v6
	s_and_b32 s2, vcc_lo, s2
	v_cndmask_b32_e64 v4, 0, 1, vcc_lo
	v_cndmask_b32_e64 v8, v8, -v6, s2
	s_mov_b64 s[2:3], s[22:23]
	s_inst_prefetch 0x1
	.p2align	6
.LBB4_84:                               ;   Parent Loop BB4_83 Depth=1
                                        ; =>  This Inner Loop Header: Depth=2
	s_clause 0x1
	global_load_dword v9, v1, s[2:3]
	global_load_dword v10, v1, s[44:45]
	s_add_i32 s46, s46, 1
	s_waitcnt vmcnt(1)
	v_div_scale_f32 v11, null, v8, v8, v9
	v_div_scale_f32 v14, vcc_lo, v9, v8, v9
	s_waitcnt vmcnt(0)
	v_sub_f32_e32 v10, v10, v2
	v_rcp_f32_e32 v12, v11
	v_fma_f32 v13, -v11, v12, 1.0
	v_fmac_f32_e32 v12, v13, v12
	v_mul_f32_e32 v13, v14, v12
	v_fma_f32 v15, -v11, v13, v14
	v_fmac_f32_e32 v13, v15, v12
	v_fma_f32 v11, -v11, v13, v14
	v_div_fmas_f32 v11, v11, v12, v13
	v_div_fixup_f32 v8, v11, v8, v9
	v_sub_f32_e32 v8, v10, v8
	v_cmp_le_f32_e32 vcc_lo, v8, v6
	v_cmp_gt_f32_e64 s47, v8, -v6
	v_add_co_ci_u32_e64 v4, null, 0, v4, vcc_lo
	s_and_b32 s47, vcc_lo, s47
	s_add_u32 s44, s44, 4
	v_cndmask_b32_e64 v8, v8, -v6, s47
	s_addc_u32 s45, s45, 0
	s_add_u32 s2, s2, 4
	s_addc_u32 s3, s3, 0
	s_cmp_lg_u32 s25, s46
	s_cbranch_scc1 .LBB4_84
; %bb.85:                               ;   in Loop: Header=BB4_83 Depth=1
	s_inst_prefetch 0x2
	v_add_f32_e32 v3, v3, v7
	s_mov_b64 s[44:45], s[42:43]
	s_mov_b32 s46, s33
	v_sub_f32_e32 v7, v5, v3
	v_cmp_gt_f32_e64 s2, v7, -v6
	v_cmp_le_f32_e32 vcc_lo, v7, v6
	s_and_b32 s2, vcc_lo, s2
	v_cndmask_b32_e64 v5, 0, 1, vcc_lo
	v_cndmask_b32_e64 v7, v7, -v6, s2
	s_mov_b64 s[2:3], s[22:23]
	s_inst_prefetch 0x1
	.p2align	6
.LBB4_86:                               ;   Parent Loop BB4_83 Depth=1
                                        ; =>  This Inner Loop Header: Depth=2
	s_clause 0x1
	global_load_dword v8, v1, s[2:3]
	global_load_dword v9, v1, s[44:45]
	s_add_i32 s46, s46, -1
	s_waitcnt vmcnt(1)
	v_div_scale_f32 v10, null, v7, v7, v8
	v_div_scale_f32 v13, vcc_lo, v8, v7, v8
	s_waitcnt vmcnt(0)
	v_sub_f32_e32 v9, v9, v3
	v_rcp_f32_e32 v11, v10
	v_fma_f32 v12, -v10, v11, 1.0
	v_fmac_f32_e32 v11, v12, v11
	v_mul_f32_e32 v12, v13, v11
	v_fma_f32 v14, -v10, v12, v13
	v_fmac_f32_e32 v12, v14, v11
	v_fma_f32 v10, -v10, v12, v13
	v_div_fmas_f32 v10, v10, v11, v12
	v_div_fixup_f32 v7, v10, v7, v8
	v_sub_f32_e32 v7, v9, v7
	v_cmp_le_f32_e32 vcc_lo, v7, v6
	v_cmp_gt_f32_e64 s47, v7, -v6
	v_add_co_ci_u32_e64 v5, null, 0, v5, vcc_lo
	s_and_b32 s47, vcc_lo, s47
	s_add_u32 s44, s44, 4
	v_cndmask_b32_e64 v7, v7, -v6, s47
	s_addc_u32 s45, s45, 0
	s_add_u32 s2, s2, 4
	s_addc_u32 s3, s3, 0
	s_cmp_lg_u32 s46, 0
	s_cbranch_scc1 .LBB4_86
; %bb.87:                               ;   in Loop: Header=BB4_83 Depth=1
	s_inst_prefetch 0x2
	v_lshlrev_b32_e32 v7, 1, v0
	v_mov_b32_e32 v8, v1
	v_add_nc_u32_e32 v0, 0x100, v0
	v_lshlrev_b64 v[7:8], 2, v[7:8]
	v_cmp_le_i32_e32 vcc_lo, s33, v0
	s_or_b32 s37, vcc_lo, s37
	v_add_co_u32 v9, s2, s4, v7
	v_add_co_ci_u32_e64 v10, null, s5, v8, s2
	v_add_co_u32 v7, s2, s18, v7
	v_add_co_ci_u32_e64 v8, null, s19, v8, s2
	global_store_dwordx2 v[9:10], v[2:3], off
	global_store_dwordx2 v[7:8], v[4:5], off
	s_andn2_b32 exec_lo, exec_lo, s37
	s_cbranch_execnz .LBB4_83
.LBB4_88:
	s_or_b32 exec_lo, exec_lo, s11
	s_and_saveexec_b32 s37, s1
	s_cbranch_execz .LBB4_96
; %bb.89:
	s_ashr_i32 s3, s25, 31
	s_mov_b32 s2, s25
	v_mov_b32_e32 v5, 0
	s_lshl_b64 s[2:3], s[2:3], 2
	s_add_u32 s42, s40, s2
	s_addc_u32 s43, s41, s3
	s_add_u32 s2, s38, s2
	s_addc_u32 s3, s39, s3
	s_clause 0x2
	global_load_dword v1, v5, s[42:43] offset:-4
	global_load_dword v4, v5, s[2:3] offset:-8
	global_load_dword v3, v5, s[40:41]
	s_cmp_gt_i32 s25, 1
	s_cselect_b32 s11, -1, 0
	s_cmp_lt_i32 s25, 2
	s_waitcnt vmcnt(1)
	v_sub_f32_e64 v0, v1, |v4|
	s_waitcnt vmcnt(0)
	v_sub_f32_e32 v7, v3, v0
	v_cmp_le_f32_e32 vcc_lo, v7, v6
	v_cndmask_b32_e64 v2, 0, 1, vcc_lo
	s_cbranch_scc1 .LBB4_92
; %bb.90:
	v_cmp_gt_f32_e64 s1, v7, -v6
	s_mov_b64 s[2:3], s[22:23]
	s_and_b32 s1, vcc_lo, s1
	v_cndmask_b32_e64 v7, v7, -v6, s1
	s_add_u32 s1, s26, s30
	s_addc_u32 s38, s27, s31
	s_add_u32 s1, s28, s1
	s_addc_u32 s39, s29, s38
	;; [unrolled: 2-line block ×3, first 2 shown]
	s_mov_b32 s1, s33
	s_inst_prefetch 0x1
	.p2align	6
.LBB4_91:                               ; =>This Inner Loop Header: Depth=1
	s_clause 0x1
	global_load_dword v8, v5, s[2:3]
	global_load_dword v9, v5, s[38:39]
	s_add_i32 s1, s1, -1
	s_waitcnt vmcnt(1)
	v_div_scale_f32 v10, null, v7, v7, v8
	v_div_scale_f32 v13, vcc_lo, v8, v7, v8
	s_waitcnt vmcnt(0)
	v_sub_f32_e32 v9, v9, v0
	v_rcp_f32_e32 v11, v10
	v_fma_f32 v12, -v10, v11, 1.0
	v_fmac_f32_e32 v11, v12, v11
	v_mul_f32_e32 v12, v13, v11
	v_fma_f32 v14, -v10, v12, v13
	v_fmac_f32_e32 v12, v14, v11
	v_fma_f32 v10, -v10, v12, v13
	v_div_fmas_f32 v10, v10, v11, v12
	v_div_fixup_f32 v7, v10, v7, v8
	v_sub_f32_e32 v7, v9, v7
	v_cmp_le_f32_e32 vcc_lo, v7, v6
	v_cmp_gt_f32_e64 s40, v7, -v6
	v_add_co_ci_u32_e64 v2, null, 0, v2, vcc_lo
	s_and_b32 s40, vcc_lo, s40
	s_add_u32 s38, s38, 4
	v_cndmask_b32_e64 v7, v7, -v6, s40
	s_addc_u32 s39, s39, 0
	s_add_u32 s2, s2, 4
	s_addc_u32 s3, s3, 0
	s_cmp_lg_u32 s1, 0
	s_cbranch_scc1 .LBB4_91
.LBB4_92:
	s_inst_prefetch 0x2
	v_and_b32_e32 v4, 0x7fffffff, v4
	s_andn2_b32 vcc_lo, exec_lo, s11
	v_add_f32_e32 v1, v1, v4
	v_sub_f32_e32 v4, v3, v1
	v_cmp_le_f32_e64 s1, v4, v6
	v_cndmask_b32_e64 v3, 0, 1, s1
	s_cbranch_vccnz .LBB4_95
; %bb.93:
	v_cmp_gt_f32_e64 s2, v4, -v6
	s_and_b32 s1, s1, s2
	v_cndmask_b32_e64 v5, v4, -v6, s1
	s_add_u32 s1, s26, s30
	s_addc_u32 s2, s27, s31
	s_add_u32 s1, s28, s1
	v_mov_b32_e32 v4, 0
	s_addc_u32 s3, s29, s2
	s_add_u32 s2, s1, 4
	s_addc_u32 s3, s3, 0
	s_inst_prefetch 0x1
	.p2align	6
.LBB4_94:                               ; =>This Inner Loop Header: Depth=1
	s_clause 0x1
	global_load_dword v7, v4, s[22:23]
	global_load_dword v8, v4, s[2:3]
	s_add_i32 s33, s33, -1
	s_waitcnt vmcnt(1)
	v_div_scale_f32 v9, null, v5, v5, v7
	v_div_scale_f32 v12, vcc_lo, v7, v5, v7
	s_waitcnt vmcnt(0)
	v_sub_f32_e32 v8, v8, v1
	v_rcp_f32_e32 v10, v9
	v_fma_f32 v11, -v9, v10, 1.0
	v_fmac_f32_e32 v10, v11, v10
	v_mul_f32_e32 v11, v12, v10
	v_fma_f32 v13, -v9, v11, v12
	v_fmac_f32_e32 v11, v13, v10
	v_fma_f32 v9, -v9, v11, v12
	v_div_fmas_f32 v9, v9, v10, v11
	v_div_fixup_f32 v5, v9, v5, v7
	v_sub_f32_e32 v5, v8, v5
	v_cmp_le_f32_e32 vcc_lo, v5, v6
	v_cmp_gt_f32_e64 s1, v5, -v6
	v_add_co_ci_u32_e64 v3, null, 0, v3, vcc_lo
	s_and_b32 s1, vcc_lo, s1
	s_add_u32 s2, s2, 4
	v_cndmask_b32_e64 v5, v5, -v6, s1
	s_addc_u32 s3, s3, 0
	s_add_u32 s22, s22, 4
	s_addc_u32 s23, s23, 0
	s_cmp_lg_u32 s33, 0
	s_cbranch_scc1 .LBB4_94
.LBB4_95:
	s_inst_prefetch 0x2
	s_ashr_i32 s11, s10, 31
	v_mov_b32_e32 v4, 0
	s_lshl_b64 s[2:3], s[10:11], 2
	s_add_u32 s22, s4, s2
	s_addc_u32 s23, s5, s3
	s_add_u32 s2, s18, s2
	s_addc_u32 s3, s19, s3
	global_store_dwordx2 v4, v[0:1], s[22:23] offset:-8
	global_store_dwordx2 v4, v[2:3], s[2:3] offset:-8
.LBB4_96:
	s_or_b32 exec_lo, exec_lo, s37
	s_mov_b32 s2, 0
	s_waitcnt_vscnt null, 0x0
	s_barrier
	buffer_gl0_inv
                                        ; implicit-def: $vgpr2
                                        ; implicit-def: $vgpr1
	s_and_saveexec_b32 s1, s0
	s_cbranch_execz .LBB4_120
; %bb.97:
	s_cmp_gt_i32 s25, 0
	s_mov_b32 s2, 1
	s_cselect_b32 s33, -1, 0
	s_cmp_lt_i32 s25, 1
	s_cbranch_scc1 .LBB4_105
; %bb.98:
	s_cmp_lg_u64 s[8:9], 0
	v_mov_b32_e32 v0, 0
	s_cselect_b32 s11, -1, 0
	s_add_u32 s3, s14, s16
	s_addc_u32 s15, s15, s17
	s_add_u32 s14, s3, 4
	s_addc_u32 s15, s15, 0
	s_branch .LBB4_100
.LBB4_99:                               ;   in Loop: Header=BB4_100 Depth=1
	s_add_i32 s2, s2, 1
	s_add_u32 s14, s14, 4
	s_addc_u32 s15, s15, 0
	s_cmp_lg_u32 s2, s10
	s_cbranch_scc0 .LBB4_105
.LBB4_100:                              ; =>This Loop Header: Depth=1
                                        ;     Child Loop BB4_101 Depth 2
	s_ashr_i32 s3, s2, 31
	s_mov_b64 s[30:31], s[14:15]
	s_lshl_b64 s[22:23], s[2:3], 2
	s_add_i32 s3, s2, -1
	s_add_u32 s26, s4, s22
	s_addc_u32 s27, s5, s23
	s_mov_b32 s29, s2
	global_load_dword v1, v0, s[26:27] offset:-4
	s_mov_b32 s28, s3
	s_waitcnt vmcnt(0)
	v_mov_b32_e32 v2, v1
.LBB4_101:                              ;   Parent Loop BB4_100 Depth=1
                                        ; =>  This Inner Loop Header: Depth=2
	global_load_dword v3, v0, s[30:31]
	s_waitcnt vmcnt(0)
	v_cmp_lt_f32_e32 vcc_lo, v3, v2
	s_and_b32 s37, vcc_lo, exec_lo
	v_cndmask_b32_e32 v2, v2, v3, vcc_lo
	s_cselect_b32 s28, s29, s28
	s_add_i32 s29, s29, 1
	s_add_u32 s30, s30, 4
	s_addc_u32 s31, s31, 0
	s_cmp_eq_u32 s10, s29
	s_cbranch_scc0 .LBB4_101
; %bb.102:                              ;   in Loop: Header=BB4_100 Depth=1
	s_cmp_lg_u32 s28, s3
	s_cbranch_scc0 .LBB4_99
; %bb.103:                              ;   in Loop: Header=BB4_100 Depth=1
	s_ashr_i32 s29, s28, 31
	s_lshl_b64 s[28:29], s[28:29], 2
	s_add_u32 s30, s4, s28
	s_addc_u32 s31, s5, s29
	s_andn2_b32 vcc_lo, exec_lo, s11
	global_store_dword v0, v1, s[30:31]
	global_store_dword v0, v2, s[26:27] offset:-4
	s_cbranch_vccnz .LBB4_99
; %bb.104:                              ;   in Loop: Header=BB4_100 Depth=1
	s_add_u32 s22, s18, s22
	s_addc_u32 s23, s19, s23
	s_add_u32 s26, s18, s28
	s_addc_u32 s27, s19, s29
	s_clause 0x1
	global_load_dword v1, v0, s[22:23] offset:-4
	global_load_dword v2, v0, s[26:27]
	s_waitcnt vmcnt(1)
	global_store_dword v0, v1, s[26:27]
	s_waitcnt vmcnt(0)
	global_store_dword v0, v2, s[22:23] offset:-4
	s_branch .LBB4_99
.LBB4_105:
	s_ashr_i32 s11, s10, 31
	v_mov_b32_e32 v1, 0
	s_lshl_b64 s[2:3], s[10:11], 2
	v_cvt_f32_i32_e32 v4, s25
	s_add_u32 s2, s4, s2
	s_addc_u32 s3, s5, s3
	s_clause 0x1
	global_load_dword v2, v1, s[4:5]
	global_load_dword v3, v1, s[2:3] offset:-4
	s_waitcnt vmcnt(0)
	v_cmp_lt_f32_e64 vcc_lo, |v2|, |v3|
	v_cndmask_b32_e32 v0, v2, v3, vcc_lo
	s_andn2_b32 vcc_lo, exec_lo, s33
	v_mul_f32_e64 v5, s36, |v0|
	v_cndmask_b32_e64 v0, 0, 1, s33
	v_fma_f32 v2, -v5, v4, v2
	v_fmac_f32_e32 v3, v5, v4
	v_sub_f32_e32 v2, v2, v6
	v_add_f32_e32 v3, v6, v3
	global_store_dword v1, v2, s[4:5]
	global_store_dword v1, v3, s[2:3] offset:-4
	s_cbranch_vccnz .LBB4_111
; %bb.106:
	s_max_i32 s11, s10, 2
	s_mov_b32 s15, 0
	s_add_i32 s11, s11, -1
	s_add_u32 s2, s8, s16
	s_addc_u32 s3, s9, s17
	s_add_u32 s2, s2, 4
	s_addc_u32 s3, s3, 0
	s_branch .LBB4_108
	.p2align	6
.LBB4_107:                              ;   in Loop: Header=BB4_108 Depth=1
	s_add_i32 s15, s15, 1
	s_add_u32 s2, s2, 4
	s_addc_u32 s3, s3, 0
	s_cmp_eq_u32 s11, s15
	s_mov_b32 s14, s11
	s_cselect_b32 s18, -1, 0
	s_andn2_b32 vcc_lo, exec_lo, s18
	s_cbranch_vccz .LBB4_110
.LBB4_108:                              ; =>This Inner Loop Header: Depth=1
	global_load_dword v2, v1, s[2:3]
	s_waitcnt vmcnt(0)
	v_cmp_le_i32_e32 vcc_lo, s34, v2
	s_cbranch_vccz .LBB4_107
; %bb.109:
	s_mov_b32 s14, s15
                                        ; implicit-def: $sgpr2_sgpr3
.LBB4_110:
	s_mov_b32 s15, 0
	s_branch .LBB4_112
.LBB4_111:
	s_mov_b64 s[14:15], 0
.LBB4_112:
	s_lshl_b64 s[2:3], s[14:15], 2
	v_mov_b32_e32 v2, 0
	s_add_u32 s2, s4, s2
	s_addc_u32 s3, s5, s3
	v_cmp_ne_u32_e32 vcc_lo, 1, v0
	s_mov_b32 s11, 1
	global_load_dword v1, v2, s[2:3]
	s_cbranch_vccnz .LBB4_118
; %bb.113:
	s_max_i32 s10, s10, 2
	s_add_i32 s14, s10, -1
	s_add_u32 s2, s8, s16
	s_addc_u32 s3, s9, s17
	s_add_u32 s2, s2, 4
	s_addc_u32 s3, s3, 0
	s_branch .LBB4_115
	.p2align	6
.LBB4_114:
	s_mov_b32 s8, s11
                                        ; implicit-def: $sgpr2_sgpr3
	s_branch .LBB4_117
.LBB4_115:                              ; =>This Inner Loop Header: Depth=1
	global_load_dword v0, v2, s[2:3]
	s_waitcnt vmcnt(0)
	v_cmp_gt_i32_e32 vcc_lo, s35, v0
	s_cbranch_vccz .LBB4_114
; %bb.116:                              ;   in Loop: Header=BB4_115 Depth=1
	s_add_i32 s11, s11, 1
	s_add_u32 s2, s2, 4
	s_addc_u32 s3, s3, 0
	s_cmp_eq_u32 s10, s11
	s_mov_b32 s8, s14
	s_cselect_b32 s9, -1, 0
	s_andn2_b32 vcc_lo, exec_lo, s9
	s_cbranch_vccnz .LBB4_115
.LBB4_117:
	s_ashr_i32 s9, s8, 31
	s_branch .LBB4_119
.LBB4_118:
	s_mov_b64 s[8:9], 0
.LBB4_119:
	s_lshl_b64 s[8:9], s[8:9], 2
	v_mov_b32_e32 v0, 0
	s_add_u32 s4, s4, s8
	s_addc_u32 s5, s5, s9
	s_mov_b32 s2, exec_lo
	global_load_dword v2, v0, s[4:5]
.LBB4_120:
	s_or_b32 exec_lo, exec_lo, s1
.LBB4_121:
	s_and_saveexec_b32 s1, s2
	s_cbranch_execz .LBB4_124
; %bb.122:
	s_and_b32 exec_lo, exec_lo, s0
	s_cbranch_execz .LBB4_124
; %bb.123:
	s_lshl_b64 s[0:1], s[6:7], 2
	v_mov_b32_e32 v0, 0
	s_add_u32 s0, s20, s0
	s_addc_u32 s1, s21, s1
	s_lshl_b32 s2, s6, 1
	s_ashr_i32 s3, s2, 31
	s_lshl_b64 s[2:3], s[2:3], 2
	s_add_u32 s2, s12, s2
	s_addc_u32 s3, s13, s3
	s_cmpk_eq_i32 s24, 0xe7
	s_cselect_b32 s4, -1, 0
	s_waitcnt vmcnt(0)
	v_cndmask_b32_e64 v2, v2, 0, s4
	v_cndmask_b32_e64 v1, v1, 0, s4
	global_store_dword v0, v6, s[0:1]
	global_store_dwordx2 v0, v[1:2], s[2:3]
.LBB4_124:
	s_endpgm
	.section	.rodata,"a",@progbits
	.p2align	6, 0x0
	.amdhsa_kernel _ZN9rocsolver6v33100L22stebz_splitting_kernelIfPfEEv15rocblas_erange_iT_S4_iiT0_iiS5_iiPiPS4_lS6_lS6_S7_S7_S7_S7_S6_S4_S4_
		.amdhsa_group_segment_fixed_size 2048
		.amdhsa_private_segment_fixed_size 0
		.amdhsa_kernarg_size 152
		.amdhsa_user_sgpr_count 6
		.amdhsa_user_sgpr_private_segment_buffer 1
		.amdhsa_user_sgpr_dispatch_ptr 0
		.amdhsa_user_sgpr_queue_ptr 0
		.amdhsa_user_sgpr_kernarg_segment_ptr 1
		.amdhsa_user_sgpr_dispatch_id 0
		.amdhsa_user_sgpr_flat_scratch_init 0
		.amdhsa_user_sgpr_private_segment_size 0
		.amdhsa_wavefront_size32 1
		.amdhsa_uses_dynamic_stack 0
		.amdhsa_system_sgpr_private_segment_wavefront_offset 0
		.amdhsa_system_sgpr_workgroup_id_x 1
		.amdhsa_system_sgpr_workgroup_id_y 1
		.amdhsa_system_sgpr_workgroup_id_z 0
		.amdhsa_system_sgpr_workgroup_info 0
		.amdhsa_system_vgpr_workitem_id 0
		.amdhsa_next_free_vgpr 21
		.amdhsa_next_free_sgpr 48
		.amdhsa_reserve_vcc 1
		.amdhsa_reserve_flat_scratch 0
		.amdhsa_float_round_mode_32 0
		.amdhsa_float_round_mode_16_64 0
		.amdhsa_float_denorm_mode_32 3
		.amdhsa_float_denorm_mode_16_64 3
		.amdhsa_dx10_clamp 1
		.amdhsa_ieee_mode 1
		.amdhsa_fp16_overflow 0
		.amdhsa_workgroup_processor_mode 1
		.amdhsa_memory_ordered 1
		.amdhsa_forward_progress 1
		.amdhsa_shared_vgpr_count 0
		.amdhsa_exception_fp_ieee_invalid_op 0
		.amdhsa_exception_fp_denorm_src 0
		.amdhsa_exception_fp_ieee_div_zero 0
		.amdhsa_exception_fp_ieee_overflow 0
		.amdhsa_exception_fp_ieee_underflow 0
		.amdhsa_exception_fp_ieee_inexact 0
		.amdhsa_exception_int_div_zero 0
	.end_amdhsa_kernel
	.section	.text._ZN9rocsolver6v33100L22stebz_splitting_kernelIfPfEEv15rocblas_erange_iT_S4_iiT0_iiS5_iiPiPS4_lS6_lS6_S7_S7_S7_S7_S6_S4_S4_,"axG",@progbits,_ZN9rocsolver6v33100L22stebz_splitting_kernelIfPfEEv15rocblas_erange_iT_S4_iiT0_iiS5_iiPiPS4_lS6_lS6_S7_S7_S7_S7_S6_S4_S4_,comdat
.Lfunc_end4:
	.size	_ZN9rocsolver6v33100L22stebz_splitting_kernelIfPfEEv15rocblas_erange_iT_S4_iiT0_iiS5_iiPiPS4_lS6_lS6_S7_S7_S7_S7_S6_S4_S4_, .Lfunc_end4-_ZN9rocsolver6v33100L22stebz_splitting_kernelIfPfEEv15rocblas_erange_iT_S4_iiT0_iiS5_iiPiPS4_lS6_lS6_S7_S7_S7_S7_S6_S4_S4_
                                        ; -- End function
	.set _ZN9rocsolver6v33100L22stebz_splitting_kernelIfPfEEv15rocblas_erange_iT_S4_iiT0_iiS5_iiPiPS4_lS6_lS6_S7_S7_S7_S7_S6_S4_S4_.num_vgpr, 21
	.set _ZN9rocsolver6v33100L22stebz_splitting_kernelIfPfEEv15rocblas_erange_iT_S4_iiT0_iiS5_iiPiPS4_lS6_lS6_S7_S7_S7_S7_S6_S4_S4_.num_agpr, 0
	.set _ZN9rocsolver6v33100L22stebz_splitting_kernelIfPfEEv15rocblas_erange_iT_S4_iiT0_iiS5_iiPiPS4_lS6_lS6_S7_S7_S7_S7_S6_S4_S4_.numbered_sgpr, 48
	.set _ZN9rocsolver6v33100L22stebz_splitting_kernelIfPfEEv15rocblas_erange_iT_S4_iiT0_iiS5_iiPiPS4_lS6_lS6_S7_S7_S7_S7_S6_S4_S4_.num_named_barrier, 0
	.set _ZN9rocsolver6v33100L22stebz_splitting_kernelIfPfEEv15rocblas_erange_iT_S4_iiT0_iiS5_iiPiPS4_lS6_lS6_S7_S7_S7_S7_S6_S4_S4_.private_seg_size, 0
	.set _ZN9rocsolver6v33100L22stebz_splitting_kernelIfPfEEv15rocblas_erange_iT_S4_iiT0_iiS5_iiPiPS4_lS6_lS6_S7_S7_S7_S7_S6_S4_S4_.uses_vcc, 1
	.set _ZN9rocsolver6v33100L22stebz_splitting_kernelIfPfEEv15rocblas_erange_iT_S4_iiT0_iiS5_iiPiPS4_lS6_lS6_S7_S7_S7_S7_S6_S4_S4_.uses_flat_scratch, 0
	.set _ZN9rocsolver6v33100L22stebz_splitting_kernelIfPfEEv15rocblas_erange_iT_S4_iiT0_iiS5_iiPiPS4_lS6_lS6_S7_S7_S7_S7_S6_S4_S4_.has_dyn_sized_stack, 0
	.set _ZN9rocsolver6v33100L22stebz_splitting_kernelIfPfEEv15rocblas_erange_iT_S4_iiT0_iiS5_iiPiPS4_lS6_lS6_S7_S7_S7_S7_S6_S4_S4_.has_recursion, 0
	.set _ZN9rocsolver6v33100L22stebz_splitting_kernelIfPfEEv15rocblas_erange_iT_S4_iiT0_iiS5_iiPiPS4_lS6_lS6_S7_S7_S7_S7_S6_S4_S4_.has_indirect_call, 0
	.section	.AMDGPU.csdata,"",@progbits
; Kernel info:
; codeLenInByte = 5964
; TotalNumSgprs: 50
; NumVgprs: 21
; ScratchSize: 0
; MemoryBound: 0
; FloatMode: 240
; IeeeMode: 1
; LDSByteSize: 2048 bytes/workgroup (compile time only)
; SGPRBlocks: 0
; VGPRBlocks: 2
; NumSGPRsForWavesPerEU: 50
; NumVGPRsForWavesPerEU: 21
; Occupancy: 16
; WaveLimiterHint : 1
; COMPUTE_PGM_RSRC2:SCRATCH_EN: 0
; COMPUTE_PGM_RSRC2:USER_SGPR: 6
; COMPUTE_PGM_RSRC2:TRAP_HANDLER: 0
; COMPUTE_PGM_RSRC2:TGID_X_EN: 1
; COMPUTE_PGM_RSRC2:TGID_Y_EN: 1
; COMPUTE_PGM_RSRC2:TGID_Z_EN: 0
; COMPUTE_PGM_RSRC2:TIDIG_COMP_CNT: 0
	.section	.text._ZN9rocsolver6v33100L22stebz_bisection_kernelIfPfEEv15rocblas_erange_iT_T0_iiS5_iiPiPS4_lS6_lS6_lS6_S6_S7_S7_S7_S7_S6_S4_S4_,"axG",@progbits,_ZN9rocsolver6v33100L22stebz_bisection_kernelIfPfEEv15rocblas_erange_iT_T0_iiS5_iiPiPS4_lS6_lS6_lS6_S6_S7_S7_S7_S7_S6_S4_S4_,comdat
	.globl	_ZN9rocsolver6v33100L22stebz_bisection_kernelIfPfEEv15rocblas_erange_iT_T0_iiS5_iiPiPS4_lS6_lS6_lS6_S6_S7_S7_S7_S7_S6_S4_S4_ ; -- Begin function _ZN9rocsolver6v33100L22stebz_bisection_kernelIfPfEEv15rocblas_erange_iT_T0_iiS5_iiPiPS4_lS6_lS6_lS6_S6_S7_S7_S7_S7_S6_S4_S4_
	.p2align	8
	.type	_ZN9rocsolver6v33100L22stebz_bisection_kernelIfPfEEv15rocblas_erange_iT_T0_iiS5_iiPiPS4_lS6_lS6_lS6_S6_S7_S7_S7_S7_S6_S4_S4_,@function
_ZN9rocsolver6v33100L22stebz_bisection_kernelIfPfEEv15rocblas_erange_iT_T0_iiS5_iiPiPS4_lS6_lS6_lS6_S6_S7_S7_S7_S7_S6_S4_S4_: ; @_ZN9rocsolver6v33100L22stebz_bisection_kernelIfPfEEv15rocblas_erange_iT_T0_iiS5_iiPiPS4_lS6_lS6_lS6_S6_S7_S7_S7_S7_S6_S4_S4_
; %bb.0:
	s_load_dwordx16 s[8:23], s[4:5], 0x30
	s_mov_b32 s0, s7
	s_ashr_i32 s1, s7, 31
	s_lshl_b64 s[2:3], s[0:1], 2
	s_waitcnt lgkmcnt(0)
	s_add_u32 s8, s8, s2
	s_addc_u32 s9, s9, s3
	s_load_dword s33, s[8:9], 0x0
	s_waitcnt lgkmcnt(0)
	s_cmp_ge_i32 s6, s33
	s_cbranch_scc1 .LBB5_85
; %bb.1:
	s_clause 0x2
	s_load_dwordx8 s[24:31], s[4:5], 0x0
	s_load_dwordx4 s[44:47], s[4:5], 0x20
	s_load_dwordx8 s[36:43], s[4:5], 0x70
	s_mul_i32 s7, s12, s1
	s_mul_hi_u32 s9, s12, s0
	s_mul_i32 s52, s13, s0
	s_mul_i32 s8, s12, s0
	;; [unrolled: 1-line block ×4, first 2 shown]
	v_lshlrev_b32_e32 v9, 4, v0
	v_lshl_or_b32 v10, v0, 2, 0x1000
	v_mov_b32_e32 v11, 0
	v_mov_b32_e32 v15, 1
                                        ; implicit-def: $sgpr59
                                        ; implicit-def: $sgpr60
                                        ; implicit-def: $vgpr16
	v_or_b32_e32 v12, 0x800, v9
	s_waitcnt lgkmcnt(0)
	s_mul_hi_i32 s35, s31, s0
	s_mul_i32 s34, s31, s0
	s_ashr_i32 s13, s30, 31
	s_mov_b32 s12, s30
	s_lshl_b64 s[30:31], s[34:35], 2
	s_mul_hi_i32 s35, s47, s0
	s_add_u32 s27, s28, s30
	s_addc_u32 s51, s29, s31
	s_lshl_b64 s[48:49], s[12:13], 2
	s_mul_i32 s34, s47, s0
	s_add_u32 s27, s27, s48
	s_addc_u32 s47, s51, s49
	s_lshl_b64 s[12:13], s[34:35], 2
	s_mov_b32 s50, s46
	s_ashr_i32 s51, s46, 31
	s_add_u32 s46, s44, s12
	s_addc_u32 s53, s45, s13
	s_lshl_b64 s[34:35], s[50:51], 2
	s_add_u32 s46, s46, s34
	s_addc_u32 s50, s53, s35
	s_add_i32 s7, s9, s7
	s_mul_hi_u32 s53, s16, s0
	s_add_i32 s9, s7, s52
	s_mul_i32 s7, s17, s0
	s_lshl_b64 s[8:9], s[8:9], 2
	s_mul_i32 s16, s16, s0
	s_add_u32 s51, s10, s8
	s_addc_u32 s52, s11, s9
	s_add_i32 s8, s53, s54
	s_mul_i32 s10, s21, s0
	s_add_i32 s17, s8, s7
	s_mul_hi_u32 s7, s20, s0
	s_lshl_b64 s[8:9], s[16:17], 2
	s_add_u32 s53, s14, s8
	s_addc_u32 s54, s15, s9
	s_add_i32 s1, s7, s1
	s_mul_i32 s8, s20, s0
	s_add_i32 s9, s1, s10
	s_lshl_b64 s[8:9], s[8:9], 2
	s_add_u32 s55, s18, s8
	s_addc_u32 s56, s19, s9
	s_add_i32 s1, s25, -1
	s_load_dwordx4 s[16:19], s[4:5], 0x90
	s_mul_i32 s8, s1, s0
	s_ashr_i32 s9, s8, 31
	s_lshl_b64 s[8:9], s[8:9], 2
	s_add_u32 s40, s40, s8
	s_addc_u32 s41, s41, s9
	s_lshl_b32 s8, s0, 1
	s_mul_i32 s0, s25, s0
	s_ashr_i32 s9, s8, 31
	s_lshl_b64 s[8:9], s[8:9], 2
	s_add_u32 s8, s42, s8
	s_addc_u32 s9, s43, s9
	s_add_u32 s10, s38, s2
	s_addc_u32 s11, s39, s3
	s_load_dword s39, s[4:5], 0xa0
	s_load_dword s38, s[10:11], 0x0
	s_add_u32 s10, s22, s2
	s_addc_u32 s11, s23, s3
	s_lshl_b32 s2, s0, 2
	s_ashr_i32 s3, s2, 31
	s_lshl_b64 s[2:3], s[2:3], 2
	s_waitcnt lgkmcnt(0)
	s_add_u32 s42, s16, s2
	s_addc_u32 s43, s17, s3
	s_add_u32 s57, s18, s2
	s_addc_u32 s58, s19, s3
	s_ashr_i32 s1, s0, 31
	v_cmp_lt_f32_e64 s2, s26, 0
	s_lshl_b64 s[0:1], s[0:1], 2
	s_add_u32 s36, s36, s0
	s_addc_u32 s37, s37, s1
	s_cmpk_lg_i32 s24, 0xe7
	v_cmp_gt_f32_e64 s0, 0x800000, s38
	s_cselect_b32 s24, -1, 0
	v_cmp_ne_u32_e64 s1, 0, v0
	v_add_f32_e64 v13, s39, s39
	v_cndmask_b32_e64 v1, 0, 0x41b17218, s0
	s_and_b32 s0, s0, exec_lo
	s_cselect_b32 s0, 32, 0
	s_add_u32 s3, s30, s48
	v_ldexp_f32 v2, s38, s0
	s_addc_u32 s4, s31, s49
	s_add_u32 s3, s28, s3
	s_addc_u32 s4, s29, s4
	s_add_u32 s48, s3, 4
	v_log_f32_e32 v2, v2
	s_addc_u32 s49, s4, 0
	s_add_u32 s3, s12, s34
	s_addc_u32 s4, s13, s35
	v_cmp_eq_u32_e64 s0, 0, v0
	s_add_u32 s3, s44, s3
	s_addc_u32 s4, s45, s4
	s_add_u32 s34, s3, 4
	s_mov_b32 s12, 0xfefa39ef
	s_addc_u32 s35, s4, 0
	v_mul_f32_e32 v3, 0x3f317217, v2
	v_cmp_gt_f32_e64 vcc_lo, 0x7f800000, |v2|
	s_mov_b32 s13, 0x3fe62e42
                                        ; implicit-def: $sgpr44
                                        ; implicit-def: $sgpr45
	v_fma_f32 v3, 0x3f317217, v2, -v3
	v_fmac_f32_e32 v3, 0x3377d1cf, v2
	v_fmac_f32_e32 v3, 0x3f317217, v2
	v_cndmask_b32_e32 v2, v2, v3, vcc_lo
	v_sub_f32_e32 v14, v2, v1
	s_branch .LBB5_4
.LBB5_2:                                ;   in Loop: Header=BB5_4 Depth=1
	s_or_b32 exec_lo, exec_lo, s3
	v_mov_b32_e32 v4, v16
	s_mov_b32 s30, s60
	s_mov_b32 s7, s59
	;; [unrolled: 1-line block ×4, first 2 shown]
.LBB5_3:                                ;   in Loop: Header=BB5_4 Depth=1
	v_mov_b32_e32 v16, v4
	s_add_i32 s6, s6, 64
	s_mov_b32 s44, s17
	s_cmp_lt_i32 s6, s33
	s_mov_b32 s45, s31
	s_mov_b32 s59, s7
	s_mov_b32 s60, s30
	s_waitcnt vmcnt(0)
	s_waitcnt_vscnt null, 0x0
	s_barrier
	buffer_gl0_inv
	s_cbranch_scc0 .LBB5_85
.LBB5_4:                                ; =>This Loop Header: Depth=1
                                        ;     Child Loop BB5_9 Depth 2
                                        ;     Child Loop BB5_20 Depth 2
	;; [unrolled: 1-line block ×4, first 2 shown]
                                        ;       Child Loop BB5_37 Depth 3
                                        ;         Child Loop BB5_40 Depth 4
                                        ;         Child Loop BB5_53 Depth 4
                                        ;     Child Loop BB5_69 Depth 2
                                        ;       Child Loop BB5_71 Depth 3
	s_ashr_i32 s7, s6, 31
	s_cmp_eq_u32 s6, 0
	s_mov_b32 s16, 0
	s_cbranch_scc1 .LBB5_6
; %bb.5:                                ;   in Loop: Header=BB5_4 Depth=1
	s_lshl_b64 s[4:5], s[6:7], 2
	s_add_u32 s4, s55, s4
	s_addc_u32 s5, s56, s5
	global_load_dword v1, v11, s[4:5] offset:-4
	s_waitcnt vmcnt(0)
	v_readfirstlane_b32 s16, v1
.LBB5_6:                                ;   in Loop: Header=BB5_4 Depth=1
	s_lshl_b64 s[14:15], s[6:7], 2
	s_add_u32 s4, s55, s14
	s_addc_u32 s5, s56, s15
	global_load_dword v1, v11, s[4:5]
	s_waitcnt vmcnt(0)
	v_readfirstlane_b32 s61, v1
	s_sub_i32 s20, s61, s16
	s_cmp_lg_u32 s20, 1
	s_cbranch_scc0 .LBB5_63
; %bb.7:                                ;   in Loop: Header=BB5_4 Depth=1
	s_ashr_i32 s17, s16, 31
	s_lshl_b64 s[4:5], s[16:17], 2
	s_add_u32 s18, s27, s4
	s_addc_u32 s19, s47, s5
	s_add_u32 s22, s46, s4
	s_addc_u32 s23, s50, s5
	s_cmp_lt_i32 s20, 3
	s_clause 0x1
	global_load_dword v1, v11, s[22:23]
	global_load_dword v6, v11, s[18:19]
	s_waitcnt vmcnt(1)
	v_and_b32_e32 v3, 0x7fffffff, v1
	s_waitcnt vmcnt(0)
	v_sub_f32_e64 v2, v6, |v1|
	v_add_f32_e64 v1, v6, |v1|
	s_cbranch_scc1 .LBB5_10
; %bb.8:                                ;   in Loop: Header=BB5_4 Depth=1
	s_add_i32 s3, s20, -2
	s_add_u32 s22, s48, s4
	s_addc_u32 s23, s49, s5
	s_add_u32 s28, s34, s4
	s_addc_u32 s29, s35, s5
	.p2align	6
.LBB5_9:                                ;   Parent Loop BB5_4 Depth=1
                                        ; =>  This Inner Loop Header: Depth=2
	s_clause 0x1
	global_load_dword v4, v11, s[22:23]
	global_load_dword v5, v11, s[28:29]
	s_add_i32 s3, s3, -1
	s_add_u32 s22, s22, 4
	s_addc_u32 s23, s23, 0
	s_add_u32 s28, s28, 4
	s_addc_u32 s29, s29, 0
	s_cmp_lg_u32 s3, 0
	s_waitcnt vmcnt(1)
	v_sub_f32_e32 v7, v4, v3
	v_add_f32_e32 v3, v3, v4
	s_waitcnt vmcnt(0)
	v_sub_f32_e64 v4, v7, |v5|
	v_add_f32_e64 v7, v3, |v5|
	v_and_b32_e32 v3, 0x7fffffff, v5
	v_cmp_lt_f32_e32 vcc_lo, v4, v2
	v_cndmask_b32_e32 v2, v2, v4, vcc_lo
	v_cmp_lt_f32_e32 vcc_lo, v1, v7
	v_cndmask_b32_e32 v1, v1, v7, vcc_lo
	s_cbranch_scc1 .LBB5_9
.LBB5_10:                               ;   in Loop: Header=BB5_4 Depth=1
	s_ashr_i32 s21, s20, 31
	s_lshl_b64 s[22:23], s[20:21], 2
	s_add_u32 s22, s18, s22
	s_addc_u32 s23, s19, s23
	global_load_dword v4, v11, s[22:23] offset:-4
	s_waitcnt vmcnt(0)
	v_sub_f32_e32 v5, v4, v3
	v_add_f32_e32 v3, v3, v4
	v_cvt_f32_i32_e32 v4, s20
	v_cmp_lt_f32_e32 vcc_lo, v5, v2
	v_cndmask_b32_e32 v2, v2, v5, vcc_lo
	v_cmp_lt_f32_e32 vcc_lo, v1, v3
	v_cndmask_b32_e32 v3, v1, v3, vcc_lo
	v_cmp_lt_f32_e64 vcc_lo, |v2|, |v3|
	v_cndmask_b32_e32 v1, v2, v3, vcc_lo
	s_andn2_b32 vcc_lo, exec_lo, s24
	v_mul_f32_e64 v5, s39, |v1|
	v_fma_f32 v1, -v5, v4, v2
	v_fmac_f32_e32 v3, v5, v4
	v_subrev_f32_e32 v1, s38, v1
	v_add_f32_e32 v2, s38, v3
	s_cbranch_vccnz .LBB5_12
; %bb.11:                               ;   in Loop: Header=BB5_4 Depth=1
	global_load_dwordx2 v[3:4], v11, s[8:9]
	s_waitcnt vmcnt(0)
	v_cmp_lt_f32_e32 vcc_lo, v1, v3
	v_cndmask_b32_e32 v1, v1, v3, vcc_lo
	v_cmp_lt_f32_e32 vcc_lo, v4, v2
	v_cndmask_b32_e32 v2, v2, v4, vcc_lo
.LBB5_12:                               ;   in Loop: Header=BB5_4 Depth=1
	v_cmp_nlt_f32_e32 vcc_lo, v1, v2
	s_mov_b32 s3, -1
	s_cbranch_vccz .LBB5_16
; %bb.13:                               ;   in Loop: Header=BB5_4 Depth=1
	s_and_saveexec_b32 s3, s0
	s_cbranch_execz .LBB5_15
; %bb.14:                               ;   in Loop: Header=BB5_4 Depth=1
	s_add_u32 s22, s36, s14
	s_addc_u32 s23, s37, s15
	ds_write_b16 v11, v11 offset:4612
	global_store_dword v11, v11, s[22:23]
.LBB5_15:                               ;   in Loop: Header=BB5_4 Depth=1
	s_or_b32 exec_lo, exec_lo, s3
	s_mov_b32 s3, 0
.LBB5_16:                               ;   in Loop: Header=BB5_4 Depth=1
	v_mov_b32_e32 v4, v16
	s_mov_b32 s30, s60
	s_andn2_b32 vcc_lo, exec_lo, s3
	s_mov_b32 s7, s59
	s_mov_b32 s17, s44
	s_cbranch_vccnz .LBB5_29
; %bb.17:                               ;   in Loop: Header=BB5_4 Depth=1
	v_sub_f32_e32 v3, v2, v1
	v_add_f32_e32 v3, s38, v3
	v_cmp_gt_f32_e32 vcc_lo, 0x800000, v3
	s_and_b32 s3, vcc_lo, exec_lo
	s_cselect_b32 s3, 32, 0
	v_cndmask_b32_e64 v4, 0, 0x41b17218, vcc_lo
	v_ldexp_f32 v3, v3, s3
	v_log_f32_e32 v3, v3
	v_mul_f32_e32 v7, 0x3f317217, v3
	v_cmp_gt_f32_e64 vcc_lo, 0x7f800000, |v3|
	v_fma_f32 v7, 0x3f317217, v3, -v7
	v_fmac_f32_e32 v7, 0x3377d1cf, v3
	v_fmac_f32_e32 v7, 0x3f317217, v3
	v_cndmask_b32_e32 v3, v3, v7, vcc_lo
	v_sub_f32_e32 v3, v3, v4
	v_sub_f32_e32 v3, v3, v14
	v_cvt_f64_f32_e32 v[3:4], v3
	v_div_scale_f64 v[7:8], null, s[12:13], s[12:13], v[3:4]
	v_div_scale_f64 v[21:22], vcc_lo, v[3:4], s[12:13], v[3:4]
	v_rcp_f64_e32 v[17:18], v[7:8]
	v_fma_f64 v[19:20], -v[7:8], v[17:18], 1.0
	v_fma_f64 v[17:18], v[17:18], v[19:20], v[17:18]
	v_fma_f64 v[19:20], -v[7:8], v[17:18], 1.0
	v_fma_f64 v[17:18], v[17:18], v[19:20], v[17:18]
	v_mul_f64 v[19:20], v[21:22], v[17:18]
	v_fma_f64 v[7:8], -v[7:8], v[19:20], v[21:22]
	v_div_fmas_f64 v[7:8], v[7:8], v[17:18], v[19:20]
	v_div_fixup_f64 v[3:4], v[7:8], s[12:13], v[3:4]
	v_cvt_i32_f64_e32 v3, v[3:4]
	v_mov_b32_e32 v4, v16
	v_readfirstlane_b32 s7, v3
	s_and_saveexec_b32 s17, s0
	s_cbranch_execz .LBB5_28
; %bb.18:                               ;   in Loop: Header=BB5_4 Depth=1
	v_sub_f32_e32 v4, v6, v1
	s_add_u32 s22, s40, s4
	s_addc_u32 s23, s41, s5
	s_cmp_gt_i32 s20, 1
	ds_write_b8 v11, v11 offset:4613
	v_cmp_ge_f32_e32 vcc_lo, s38, v4
	s_cselect_b32 s21, -1, 0
	s_cmp_lt_i32 s20, 2
	v_cndmask_b32_e64 v3, 0, 1, vcc_lo
	s_cbranch_scc1 .LBB5_21
; %bb.19:                               ;   in Loop: Header=BB5_4 Depth=1
	v_cmp_gt_f32_e64 s3, v4, -s38
	s_not_b32 s28, s16
	s_mov_b64 s[30:31], s[22:23]
	s_and_b32 s3, vcc_lo, s3
	v_cndmask_b32_e64 v4, v4, -s38, s3
	s_add_i32 s3, s28, s61
	s_add_u32 s28, s48, s4
	s_addc_u32 s29, s49, s5
	s_inst_prefetch 0x1
	.p2align	6
.LBB5_20:                               ;   Parent Loop BB5_4 Depth=1
                                        ; =>  This Inner Loop Header: Depth=2
	s_clause 0x1
	global_load_dword v7, v11, s[30:31]
	global_load_dword v8, v11, s[28:29]
	s_add_i32 s3, s3, -1
	s_waitcnt vmcnt(1)
	v_div_scale_f32 v17, null, v4, v4, v7
	v_div_scale_f32 v20, vcc_lo, v7, v4, v7
	s_waitcnt vmcnt(0)
	v_sub_f32_e32 v8, v8, v1
	v_rcp_f32_e32 v18, v17
	v_fma_f32 v19, -v17, v18, 1.0
	v_fmac_f32_e32 v18, v19, v18
	v_mul_f32_e32 v19, v20, v18
	v_fma_f32 v21, -v17, v19, v20
	v_fmac_f32_e32 v19, v21, v18
	v_fma_f32 v17, -v17, v19, v20
	v_div_fmas_f32 v17, v17, v18, v19
	v_div_fixup_f32 v4, v17, v4, v7
	v_sub_f32_e32 v4, v8, v4
	v_cmp_ge_f32_e32 vcc_lo, s38, v4
	v_cmp_gt_f32_e64 s62, v4, -s38
	v_add_co_ci_u32_e64 v3, null, 0, v3, vcc_lo
	s_and_b32 s62, vcc_lo, s62
	s_add_u32 s28, s28, 4
	v_cndmask_b32_e64 v4, v4, -s38, s62
	s_addc_u32 s29, s29, 0
	s_add_u32 s30, s30, 4
	s_addc_u32 s31, s31, 0
	s_cmp_lg_u32 s3, 0
	s_cbranch_scc1 .LBB5_20
.LBB5_21:                               ;   in Loop: Header=BB5_4 Depth=1
	s_inst_prefetch 0x2
	v_sub_f32_e32 v6, v6, v2
	s_andn2_b32 vcc_lo, exec_lo, s21
	v_cmp_ge_f32_e64 s3, s38, v6
	v_cndmask_b32_e64 v4, 0, 1, s3
	s_cbranch_vccnz .LBB5_24
; %bb.22:                               ;   in Loop: Header=BB5_4 Depth=1
	v_cmp_gt_f32_e64 s21, v6, -s38
	s_not_b32 s28, s16
	s_and_b32 s3, s3, s21
	v_cndmask_b32_e64 v6, v6, -s38, s3
	s_add_i32 s3, s28, s61
	s_add_u32 s28, s48, s4
	s_addc_u32 s29, s49, s5
	s_inst_prefetch 0x1
	.p2align	6
.LBB5_23:                               ;   Parent Loop BB5_4 Depth=1
                                        ; =>  This Inner Loop Header: Depth=2
	s_clause 0x1
	global_load_dword v7, v11, s[22:23]
	global_load_dword v8, v11, s[28:29]
	s_add_i32 s3, s3, -1
	s_waitcnt vmcnt(1)
	v_div_scale_f32 v17, null, v6, v6, v7
	v_div_scale_f32 v20, vcc_lo, v7, v6, v7
	s_waitcnt vmcnt(0)
	v_sub_f32_e32 v8, v8, v2
	v_rcp_f32_e32 v18, v17
	v_fma_f32 v19, -v17, v18, 1.0
	v_fmac_f32_e32 v18, v19, v18
	v_mul_f32_e32 v19, v20, v18
	v_fma_f32 v21, -v17, v19, v20
	v_fmac_f32_e32 v19, v21, v18
	v_fma_f32 v17, -v17, v19, v20
	v_div_fmas_f32 v17, v17, v18, v19
	v_div_fixup_f32 v6, v17, v6, v7
	v_sub_f32_e32 v6, v8, v6
	v_cmp_ge_f32_e32 vcc_lo, s38, v6
	v_cmp_gt_f32_e64 s21, v6, -s38
	v_add_co_ci_u32_e64 v4, null, 0, v4, vcc_lo
	s_and_b32 s21, vcc_lo, s21
	s_add_u32 s28, s28, 4
	v_cndmask_b32_e64 v6, v6, -s38, s21
	s_addc_u32 s29, s29, 0
	s_add_u32 s22, s22, 4
	s_addc_u32 s23, s23, 0
	s_cmp_lg_u32 s3, 0
	s_cbranch_scc1 .LBB5_23
.LBB5_24:                               ;   in Loop: Header=BB5_4 Depth=1
	s_inst_prefetch 0x2
	v_sub_nc_u32_e32 v6, v4, v3
	s_mov_b32 s3, -1
	v_cmp_gt_i32_e32 vcc_lo, 1, v6
	s_cbranch_vccz .LBB5_26
; %bb.25:                               ;   in Loop: Header=BB5_4 Depth=1
	s_add_u32 s22, s36, s14
	s_addc_u32 s23, s37, s15
	ds_write_b8 v11, v11 offset:4612
	s_mov_b32 s3, 0
	global_store_dword v11, v11, s[22:23]
.LBB5_26:                               ;   in Loop: Header=BB5_4 Depth=1
	s_andn2_b32 vcc_lo, exec_lo, s3
	s_cbranch_vccnz .LBB5_28
; %bb.27:                               ;   in Loop: Header=BB5_4 Depth=1
	s_add_i32 s3, s16, s25
	ds_write_b8 v11, v15 offset:4612
	s_lshl_b32 s22, s3, 1
	s_ashr_i32 s23, s22, 31
	s_lshl_b64 s[22:23], s[22:23], 2
	s_add_u32 s28, s42, s22
	s_addc_u32 s29, s43, s23
	s_add_u32 s30, s36, s14
	s_addc_u32 s31, s37, s15
	;; [unrolled: 2-line block ×3, first 2 shown]
	global_store_dwordx2 v11, v[1:2], s[28:29]
	global_store_dword v11, v6, s[30:31]
	global_store_dwordx2 v11, v[3:4], s[22:23]
.LBB5_28:                               ;   in Loop: Header=BB5_4 Depth=1
	s_or_b32 exec_lo, exec_lo, s17
	s_add_i32 s7, s7, 2
	s_mov_b32 s17, 0
	s_mov_b32 s30, 1
.LBB5_29:                               ;   in Loop: Header=BB5_4 Depth=1
	s_waitcnt lgkmcnt(0)
	s_waitcnt_vscnt null, 0x0
	s_barrier
	buffer_gl0_inv
	ds_read_u16 v1, v11 offset:4612
	s_waitcnt lgkmcnt(0)
	v_readfirstlane_b32 s3, v1
	s_bitcmp1_b32 s3, 0
	s_cselect_b32 s28, -1, 0
	s_bitcmp1_b32 s3, 8
	s_cselect_b32 s3, -1, 0
	s_xor_b32 s21, s3, -1
	s_and_b32 s21, s28, s21
	s_cmp_lt_i32 s17, s7
	s_cselect_b32 s22, -1, 0
	s_and_b32 s21, s21, s22
	s_andn2_b32 vcc_lo, exec_lo, s21
	s_cbranch_vccnz .LBB5_64
; %bb.30:                               ;   in Loop: Header=BB5_4 Depth=1
	v_cndmask_b32_e64 v1, s26, v5, s2
	s_add_i32 s3, s16, s25
	s_lshl_b32 s62, s16, 1
	s_lshl_b32 s63, s3, 1
	s_add_u32 s22, s40, s4
	v_cmp_gt_f32_e32 vcc_lo, s38, v1
	s_addc_u32 s23, s41, s5
	s_cmp_gt_i32 s20, 1
	s_cselect_b32 s64, -1, 0
	s_not_b32 s3, s16
	v_cndmask_b32_e64 v17, v1, s38, vcc_lo
	s_add_i32 s61, s3, s61
	s_add_u32 s20, s48, s4
	s_addc_u32 s21, s49, s5
	s_branch .LBB5_32
.LBB5_31:                               ;   in Loop: Header=BB5_32 Depth=2
	s_or_b32 exec_lo, exec_lo, s3
	s_waitcnt lgkmcnt(0)
	s_barrier
	buffer_gl0_inv
	ds_read_u16 v1, v11 offset:4612
	s_add_i32 s17, s17, 1
	s_waitcnt lgkmcnt(0)
	v_readfirstlane_b32 s3, v1
	s_bitcmp1_b32 s3, 0
	s_cselect_b32 s28, -1, 0
	s_bitcmp1_b32 s3, 8
	s_cselect_b32 s3, -1, 0
	s_xor_b32 s4, s3, -1
	s_and_b32 s4, s28, s4
	s_cmp_lt_i32 s17, s7
	s_cselect_b32 s5, -1, 0
	s_and_b32 s4, s4, s5
	s_and_b32 vcc_lo, exec_lo, s4
	s_cbranch_vccz .LBB5_65
.LBB5_32:                               ;   Parent Loop BB5_4 Depth=1
                                        ; =>  This Loop Header: Depth=2
                                        ;       Child Loop BB5_37 Depth 3
                                        ;         Child Loop BB5_40 Depth 4
                                        ;         Child Loop BB5_53 Depth 4
	s_and_saveexec_b32 s3, s0
; %bb.33:                               ;   in Loop: Header=BB5_32 Depth=2
	ds_write_b32 v11, v11 offset:4608
; %bb.34:                               ;   in Loop: Header=BB5_32 Depth=2
	s_or_b32 exec_lo, exec_lo, s3
	s_bitcmp0_b32 s17, 0
	s_cselect_b32 s3, -1, 0
	s_and_b32 s4, s3, exec_lo
	s_cselect_b32 s31, s62, s63
	s_cmp_lt_i32 s30, 1
	s_cbranch_scc1 .LBB5_60
; %bb.35:                               ;   in Loop: Header=BB5_32 Depth=2
	s_and_b32 s3, s3, exec_lo
	s_cselect_b32 s65, s63, s62
	s_mov_b32 s66, 0
	s_branch .LBB5_37
.LBB5_36:                               ;   in Loop: Header=BB5_37 Depth=3
	s_or_b32 exec_lo, exec_lo, s4
	s_addk_i32 s66, 0x80
	s_waitcnt lgkmcnt(0)
	s_cmp_ge_i32 s66, s30
	s_barrier
	buffer_gl0_inv
	s_cbranch_scc1 .LBB5_60
.LBB5_37:                               ;   Parent Loop BB5_4 Depth=1
                                        ;     Parent Loop BB5_32 Depth=2
                                        ; =>    This Loop Header: Depth=3
                                        ;         Child Loop BB5_40 Depth 4
                                        ;         Child Loop BB5_53 Depth 4
	v_add_nc_u32_e32 v1, s66, v0
	v_cmp_gt_i32_e64 s3, s30, v1
	s_and_saveexec_b32 s67, s3
	s_cbranch_execz .LBB5_50
; %bb.38:                               ;   in Loop: Header=BB5_37 Depth=3
	v_lshl_add_u32 v1, v1, 1, s65
	v_ashrrev_i32_e32 v2, 31, v1
	v_lshlrev_b64 v[3:4], 2, v[1:2]
	v_add_co_u32 v1, vcc_lo, s42, v3
	v_add_co_ci_u32_e64 v2, null, s43, v4, vcc_lo
	v_add_co_u32 v3, vcc_lo, s57, v3
	v_add_co_ci_u32_e64 v4, null, s58, v4, vcc_lo
	global_load_dwordx2 v[7:8], v[1:2], off
	global_load_dword v2, v11, s[18:19]
	s_andn2_b32 vcc_lo, exec_lo, s64
	global_load_dwordx2 v[3:4], v[3:4], off
	s_waitcnt vmcnt(2)
	v_add_f32_e32 v1, v7, v8
	s_waitcnt vmcnt(1)
	v_fmac_f32_e32 v2, -0.5, v1
	v_mul_f32_e32 v6, 0.5, v1
	v_cmp_ge_f32_e64 s4, s38, v2
	v_cndmask_b32_e64 v1, 0, 1, s4
	s_cbranch_vccnz .LBB5_41
; %bb.39:                               ;   in Loop: Header=BB5_37 Depth=3
	v_cmp_gt_f32_e64 s5, v2, -s38
	s_mov_b64 s[28:29], s[20:21]
	s_mov_b32 s68, s61
	s_and_b32 s4, s4, s5
	v_cndmask_b32_e64 v2, v2, -s38, s4
	s_mov_b64 s[4:5], s[22:23]
	s_inst_prefetch 0x1
	.p2align	6
.LBB5_40:                               ;   Parent Loop BB5_4 Depth=1
                                        ;     Parent Loop BB5_32 Depth=2
                                        ;       Parent Loop BB5_37 Depth=3
                                        ; =>      This Inner Loop Header: Depth=4
	s_clause 0x1
	global_load_dword v5, v11, s[4:5]
	global_load_dword v18, v11, s[28:29]
	s_add_i32 s68, s68, -1
	s_waitcnt vmcnt(1)
	v_div_scale_f32 v19, null, v2, v2, v5
	v_div_scale_f32 v22, vcc_lo, v5, v2, v5
	s_waitcnt vmcnt(0)
	v_sub_f32_e32 v18, v18, v6
	v_rcp_f32_e32 v20, v19
	v_fma_f32 v21, -v19, v20, 1.0
	v_fmac_f32_e32 v20, v21, v20
	v_mul_f32_e32 v21, v22, v20
	v_fma_f32 v23, -v19, v21, v22
	v_fmac_f32_e32 v21, v23, v20
	v_fma_f32 v19, -v19, v21, v22
	v_div_fmas_f32 v19, v19, v20, v21
	v_div_fixup_f32 v2, v19, v2, v5
	v_sub_f32_e32 v2, v18, v2
	v_cmp_ge_f32_e32 vcc_lo, s38, v2
	v_cmp_gt_f32_e64 s69, v2, -s38
	v_add_co_ci_u32_e64 v1, null, 0, v1, vcc_lo
	s_and_b32 s69, vcc_lo, s69
	s_add_u32 s28, s28, 4
	v_cndmask_b32_e64 v2, v2, -s38, s69
	s_addc_u32 s29, s29, 0
	s_add_u32 s4, s4, 4
	s_addc_u32 s5, s5, 0
	s_cmp_lg_u32 s68, 0
	s_cbranch_scc1 .LBB5_40
.LBB5_41:                               ;   in Loop: Header=BB5_37 Depth=3
	s_inst_prefetch 0x2
	s_waitcnt vmcnt(0)
	v_max_i32_e32 v1, v1, v3
	s_mov_b32 s4, exec_lo
	v_min_i32_e32 v2, v1, v4
	v_cmpx_ne_u32_e64 v2, v3
	s_xor_b32 s4, exec_lo, s4
	s_cbranch_execz .LBB5_47
; %bb.42:                               ;   in Loop: Header=BB5_37 Depth=3
	s_mov_b32 s5, exec_lo
	v_cmpx_le_i32_e64 v4, v1
	s_xor_b32 s5, exec_lo, s5
	s_cbranch_execz .LBB5_44
; %bb.43:                               ;   in Loop: Header=BB5_37 Depth=3
	v_mov_b32_e32 v8, v6
	v_mov_b32_e32 v1, v3
	ds_write_b32 v10, v11
	ds_write_b64 v9, v[7:8]
	ds_write_b64 v12, v[1:2]
                                        ; implicit-def: $vgpr7_vgpr8
.LBB5_44:                               ;   in Loop: Header=BB5_37 Depth=3
	s_andn2_saveexec_b32 s5, s5
	s_cbranch_execz .LBB5_46
; %bb.45:                               ;   in Loop: Header=BB5_37 Depth=3
	v_mov_b32_e32 v5, v7
	v_mov_b32_e32 v7, v6
	;; [unrolled: 1-line block ×4, first 2 shown]
	ds_write_b32 v10, v15
	ds_write_b128 v9, v[5:8]
	ds_write_b128 v12, v[1:4]
.LBB5_46:                               ;   in Loop: Header=BB5_37 Depth=3
	s_or_b32 exec_lo, exec_lo, s5
                                        ; implicit-def: $vgpr6
.LBB5_47:                               ;   in Loop: Header=BB5_37 Depth=3
	s_andn2_saveexec_b32 s4, s4
	s_cbranch_execz .LBB5_49
; %bb.48:                               ;   in Loop: Header=BB5_37 Depth=3
	v_mov_b32_e32 v7, v8
	ds_write_b32 v10, v11
	ds_write_b64 v9, v[6:7]
	ds_write_b64 v12, v[3:4]
.LBB5_49:                               ;   in Loop: Header=BB5_37 Depth=3
	s_or_b32 exec_lo, exec_lo, s4
.LBB5_50:                               ;   in Loop: Header=BB5_37 Depth=3
	s_or_b32 exec_lo, exec_lo, s67
	s_waitcnt lgkmcnt(0)
	s_barrier
	buffer_gl0_inv
	s_and_saveexec_b32 s4, s3
	s_cbranch_execz .LBB5_58
; %bb.51:                               ;   in Loop: Header=BB5_37 Depth=3
	v_mov_b32_e32 v4, 0
	s_and_saveexec_b32 s3, s1
	s_cbranch_execz .LBB5_55
; %bb.52:                               ;   in Loop: Header=BB5_37 Depth=3
	v_mov_b32_e32 v4, 0
	v_mov_b32_e32 v1, v0
	s_movk_i32 s28, 0x1000
	s_mov_b32 s5, 0
.LBB5_53:                               ;   Parent Loop BB5_4 Depth=1
                                        ;     Parent Loop BB5_32 Depth=2
                                        ;       Parent Loop BB5_37 Depth=3
                                        ; =>      This Inner Loop Header: Depth=4
	v_mov_b32_e32 v2, s28
	v_add_nc_u32_e32 v1, -1, v1
	s_add_i32 s28, s28, 4
	ds_read_b32 v2, v2
	v_cmp_eq_u32_e32 vcc_lo, 0, v1
	s_or_b32 s5, vcc_lo, s5
	s_waitcnt lgkmcnt(0)
	v_add_nc_u32_e32 v4, v2, v4
	s_andn2_b32 exec_lo, exec_lo, s5
	s_cbranch_execnz .LBB5_53
; %bb.54:                               ;   in Loop: Header=BB5_37 Depth=3
	s_or_b32 exec_lo, exec_lo, s5
.LBB5_55:                               ;   in Loop: Header=BB5_37 Depth=3
	s_or_b32 exec_lo, exec_lo, s3
	ds_read_b32 v1, v11 offset:4608
	ds_read_b64 v[7:8], v12
	ds_read_b32 v3, v10
	ds_read_b64 v[18:19], v9
	s_mov_b32 s3, exec_lo
	s_waitcnt lgkmcnt(3)
	v_add3_u32 v1, v4, v0, v1
	v_lshl_add_u32 v1, v1, 1, s31
	v_ashrrev_i32_e32 v2, 31, v1
	v_lshlrev_b64 v[5:6], 2, v[1:2]
	v_add_co_u32 v1, vcc_lo, s42, v5
	v_add_co_ci_u32_e64 v2, null, s43, v6, vcc_lo
	v_add_co_u32 v5, vcc_lo, s57, v5
	v_add_co_ci_u32_e64 v6, null, s58, v6, vcc_lo
	s_waitcnt lgkmcnt(0)
	global_store_dwordx2 v[1:2], v[18:19], off
	global_store_dwordx2 v[5:6], v[7:8], off
	v_cmpx_ne_u32_e32 0, v3
	s_cbranch_execz .LBB5_57
; %bb.56:                               ;   in Loop: Header=BB5_37 Depth=3
	ds_read_b64 v[7:8], v9 offset:8
	ds_read_b64 v[18:19], v12 offset:8
	s_waitcnt lgkmcnt(1)
	global_store_dwordx2 v[1:2], v[7:8], off offset:8
	s_waitcnt lgkmcnt(0)
	global_store_dwordx2 v[5:6], v[18:19], off offset:8
.LBB5_57:                               ;   in Loop: Header=BB5_37 Depth=3
	s_or_b32 exec_lo, exec_lo, s3
.LBB5_58:                               ;   in Loop: Header=BB5_37 Depth=3
	s_or_b32 exec_lo, exec_lo, s4
	s_sub_i32 s3, s30, s66
	s_waitcnt_vscnt null, 0x0
	s_min_i32 s3, s3, 0x80
	s_barrier
	s_add_i32 s4, s3, -1
	buffer_gl0_inv
	v_cmp_eq_u32_e32 vcc_lo, s4, v0
	s_and_saveexec_b32 s4, vcc_lo
	s_cbranch_execz .LBB5_36
; %bb.59:                               ;   in Loop: Header=BB5_37 Depth=3
	ds_read_b32 v1, v10
	ds_read_b32 v2, v11 offset:4608
	v_add_nc_u32_e32 v3, s3, v4
	s_waitcnt lgkmcnt(0)
	v_add3_u32 v1, v3, v1, v2
	ds_write_b32 v11, v1 offset:4608
	s_branch .LBB5_36
.LBB5_60:                               ;   in Loop: Header=BB5_32 Depth=2
	ds_read_b32 v1, v11 offset:4608
	s_waitcnt lgkmcnt(0)
	v_readfirstlane_b32 s30, v1
	s_and_saveexec_b32 s3, s0
	s_cbranch_execz .LBB5_31
; %bb.61:                               ;   in Loop: Header=BB5_32 Depth=2
	ds_read_b64 v[1:2], v11
	s_waitcnt lgkmcnt(0)
	v_cmp_lt_f32_e64 vcc_lo, |v1|, |v2|
	v_cndmask_b32_e32 v3, v1, v2, vcc_lo
	v_sub_f32_e32 v1, v2, v1
	v_mul_f32_e64 v3, v13, |v3|
	v_cmp_lt_f32_e32 vcc_lo, v17, v3
	v_cndmask_b32_e32 v2, v17, v3, vcc_lo
	v_cmp_nlt_f32_e32 vcc_lo, v1, v2
	s_cbranch_vccnz .LBB5_31
; %bb.62:                               ;   in Loop: Header=BB5_32 Depth=2
	ds_write_b8 v11, v15 offset:4613
	s_branch .LBB5_31
.LBB5_63:                               ;   in Loop: Header=BB5_4 Depth=1
                                        ; implicit-def: $sgpr17
                                        ; implicit-def: $sgpr31
                                        ; implicit-def: $sgpr7
                                        ; implicit-def: $sgpr30
                                        ; implicit-def: $vgpr4
	s_cbranch_execz .LBB5_3
	s_branch .LBB5_77
.LBB5_64:                               ;   in Loop: Header=BB5_4 Depth=1
	s_mov_b32 s31, s45
.LBB5_65:                               ;   in Loop: Header=BB5_4 Depth=1
	s_and_b32 s4, s0, s28
	s_and_saveexec_b32 s20, s4
	s_cbranch_execz .LBB5_76
; %bb.66:                               ;   in Loop: Header=BB5_4 Depth=1
	s_cmp_lt_i32 s30, 1
	s_cbranch_scc1 .LBB5_74
; %bb.67:                               ;   in Loop: Header=BB5_4 Depth=1
	s_add_i32 s4, s6, 1
	s_not_b32 s5, s6
	s_and_b32 s18, s3, exec_lo
	s_cselect_b32 s21, s4, s5
	s_mov_b32 s22, 0
	s_mov_b32 s23, 0
	s_inst_prefetch 0x1
	s_branch .LBB5_69
	.p2align	6
.LBB5_68:                               ;   in Loop: Header=BB5_69 Depth=2
	s_add_i32 s22, s22, 1
	s_cmp_eq_u32 s22, s30
	s_cbranch_scc1 .LBB5_73
.LBB5_69:                               ;   Parent Loop BB5_4 Depth=1
                                        ; =>  This Loop Header: Depth=2
                                        ;       Child Loop BB5_71 Depth 3
	s_lshl_b32 s4, s22, 1
	s_add_i32 s4, s4, s31
	s_ashr_i32 s5, s4, 31
	s_lshl_b64 s[4:5], s[4:5], 2
	s_add_u32 s18, s57, s4
	s_addc_u32 s19, s58, s5
	global_load_dwordx2 v[1:2], v11, s[18:19]
	s_waitcnt vmcnt(0)
	v_readfirstlane_b32 s18, v1
	v_readfirstlane_b32 s28, v2
	s_sub_i32 s29, s28, s18
	s_cmp_lt_i32 s29, 1
	s_cbranch_scc1 .LBB5_68
; %bb.70:                               ;   in Loop: Header=BB5_69 Depth=2
	s_add_u32 s4, s42, s4
	s_addc_u32 s5, s43, s5
	s_mov_b32 s61, 0
	global_load_dwordx2 v[1:2], v11, s[4:5]
	s_add_i32 s4, s16, s23
	s_ashr_i32 s5, s4, 31
	s_lshl_b64 s[18:19], s[4:5], 2
	s_add_u32 s4, s51, s18
	s_addc_u32 s5, s52, s19
	s_add_u32 s18, s53, s18
	s_addc_u32 s19, s54, s19
	s_waitcnt vmcnt(0)
	v_add_f32_e32 v1, v1, v2
	v_mul_f32_e32 v1, 0.5, v1
.LBB5_71:                               ;   Parent Loop BB5_4 Depth=1
                                        ;     Parent Loop BB5_69 Depth=2
                                        ; =>    This Inner Loop Header: Depth=3
	v_mov_b32_e32 v2, s21
	s_add_i32 s61, s61, 1
	global_store_dword v11, v1, s[4:5]
	s_add_u32 s4, s4, 4
	s_addc_u32 s5, s5, 0
	global_store_dword v11, v2, s[18:19]
	s_add_u32 s18, s18, 4
	s_addc_u32 s19, s19, 0
	s_cmp_ge_i32 s61, s29
	s_cbranch_scc0 .LBB5_71
; %bb.72:                               ;   in Loop: Header=BB5_69 Depth=2
	s_add_i32 s23, s23, s61
	s_branch .LBB5_68
.LBB5_73:                               ;   in Loop: Header=BB5_4 Depth=1
	s_inst_prefetch 0x2
	v_mov_b32_e32 v4, s28
.LBB5_74:                               ;   in Loop: Header=BB5_4 Depth=1
	s_xor_b32 s3, s3, -1
	s_and_b32 vcc_lo, exec_lo, s3
	s_cbranch_vccz .LBB5_76
; %bb.75:                               ;   in Loop: Header=BB5_4 Depth=1
	global_store_dword v11, v15, s[10:11]
.LBB5_76:                               ;   in Loop: Header=BB5_4 Depth=1
	s_or_b32 exec_lo, exec_lo, s20
	s_branch .LBB5_3
.LBB5_77:                               ;   in Loop: Header=BB5_4 Depth=1
	s_and_saveexec_b32 s3, s0
	s_cbranch_execz .LBB5_2
; %bb.78:                               ;   in Loop: Header=BB5_4 Depth=1
	s_ashr_i32 s17, s16, 31
	s_mov_b32 s7, -1
	s_lshl_b64 s[4:5], s[16:17], 2
	s_add_u32 s16, s27, s4
	s_addc_u32 s17, s47, s5
	s_andn2_b32 vcc_lo, exec_lo, s24
	global_load_dword v1, v11, s[16:17]
	s_cbranch_vccnz .LBB5_83
; %bb.79:                               ;   in Loop: Header=BB5_4 Depth=1
	global_load_dword v3, v11, s[8:9]
	s_waitcnt vmcnt(1)
	v_subrev_f32_e32 v2, s38, v1
	s_mov_b32 s7, 0
	s_waitcnt vmcnt(0)
	v_cmp_lt_f32_e32 vcc_lo, v3, v2
	v_cmp_nlt_f32_e64 s16, v3, v2
	s_cbranch_vccz .LBB5_81
; %bb.80:                               ;   in Loop: Header=BB5_4 Depth=1
	global_load_dword v3, v11, s[8:9] offset:4
	s_mov_b32 s7, -1
	s_waitcnt vmcnt(0)
	v_cmp_nge_f32_e64 s16, v3, v2
.LBB5_81:                               ;   in Loop: Header=BB5_4 Depth=1
	s_andn2_b32 vcc_lo, exec_lo, s16
	s_cbranch_vccnz .LBB5_83
; %bb.82:                               ;   in Loop: Header=BB5_4 Depth=1
	s_add_u32 s16, s36, s14
	s_addc_u32 s17, s37, s15
	s_mov_b32 s7, 0
	global_store_dword v11, v11, s[16:17]
.LBB5_83:                               ;   in Loop: Header=BB5_4 Depth=1
	s_and_b32 vcc_lo, exec_lo, s7
	s_cbranch_vccz .LBB5_2
; %bb.84:                               ;   in Loop: Header=BB5_4 Depth=1
	s_add_u32 s16, s51, s4
	s_addc_u32 s17, s52, s5
	s_add_u32 s14, s36, s14
	s_addc_u32 s15, s37, s15
	s_add_i32 s7, s6, 1
	s_add_u32 s4, s53, s4
	v_mov_b32_e32 v2, s7
	s_addc_u32 s5, s54, s5
	s_waitcnt vmcnt(0)
	global_store_dword v11, v1, s[16:17]
	global_store_dword v11, v15, s[14:15]
	;; [unrolled: 1-line block ×3, first 2 shown]
	s_branch .LBB5_2
.LBB5_85:
	s_endpgm
	.section	.rodata,"a",@progbits
	.p2align	6, 0x0
	.amdhsa_kernel _ZN9rocsolver6v33100L22stebz_bisection_kernelIfPfEEv15rocblas_erange_iT_T0_iiS5_iiPiPS4_lS6_lS6_lS6_S6_S7_S7_S7_S7_S6_S4_S4_
		.amdhsa_group_segment_fixed_size 4616
		.amdhsa_private_segment_fixed_size 0
		.amdhsa_kernarg_size 168
		.amdhsa_user_sgpr_count 6
		.amdhsa_user_sgpr_private_segment_buffer 1
		.amdhsa_user_sgpr_dispatch_ptr 0
		.amdhsa_user_sgpr_queue_ptr 0
		.amdhsa_user_sgpr_kernarg_segment_ptr 1
		.amdhsa_user_sgpr_dispatch_id 0
		.amdhsa_user_sgpr_flat_scratch_init 0
		.amdhsa_user_sgpr_private_segment_size 0
		.amdhsa_wavefront_size32 1
		.amdhsa_uses_dynamic_stack 0
		.amdhsa_system_sgpr_private_segment_wavefront_offset 0
		.amdhsa_system_sgpr_workgroup_id_x 1
		.amdhsa_system_sgpr_workgroup_id_y 1
		.amdhsa_system_sgpr_workgroup_id_z 0
		.amdhsa_system_sgpr_workgroup_info 0
		.amdhsa_system_vgpr_workitem_id 0
		.amdhsa_next_free_vgpr 24
		.amdhsa_next_free_sgpr 70
		.amdhsa_reserve_vcc 1
		.amdhsa_reserve_flat_scratch 0
		.amdhsa_float_round_mode_32 0
		.amdhsa_float_round_mode_16_64 0
		.amdhsa_float_denorm_mode_32 3
		.amdhsa_float_denorm_mode_16_64 3
		.amdhsa_dx10_clamp 1
		.amdhsa_ieee_mode 1
		.amdhsa_fp16_overflow 0
		.amdhsa_workgroup_processor_mode 1
		.amdhsa_memory_ordered 1
		.amdhsa_forward_progress 1
		.amdhsa_shared_vgpr_count 0
		.amdhsa_exception_fp_ieee_invalid_op 0
		.amdhsa_exception_fp_denorm_src 0
		.amdhsa_exception_fp_ieee_div_zero 0
		.amdhsa_exception_fp_ieee_overflow 0
		.amdhsa_exception_fp_ieee_underflow 0
		.amdhsa_exception_fp_ieee_inexact 0
		.amdhsa_exception_int_div_zero 0
	.end_amdhsa_kernel
	.section	.text._ZN9rocsolver6v33100L22stebz_bisection_kernelIfPfEEv15rocblas_erange_iT_T0_iiS5_iiPiPS4_lS6_lS6_lS6_S6_S7_S7_S7_S7_S6_S4_S4_,"axG",@progbits,_ZN9rocsolver6v33100L22stebz_bisection_kernelIfPfEEv15rocblas_erange_iT_T0_iiS5_iiPiPS4_lS6_lS6_lS6_S6_S7_S7_S7_S7_S6_S4_S4_,comdat
.Lfunc_end5:
	.size	_ZN9rocsolver6v33100L22stebz_bisection_kernelIfPfEEv15rocblas_erange_iT_T0_iiS5_iiPiPS4_lS6_lS6_lS6_S6_S7_S7_S7_S7_S6_S4_S4_, .Lfunc_end5-_ZN9rocsolver6v33100L22stebz_bisection_kernelIfPfEEv15rocblas_erange_iT_T0_iiS5_iiPiPS4_lS6_lS6_lS6_S6_S7_S7_S7_S7_S6_S4_S4_
                                        ; -- End function
	.set _ZN9rocsolver6v33100L22stebz_bisection_kernelIfPfEEv15rocblas_erange_iT_T0_iiS5_iiPiPS4_lS6_lS6_lS6_S6_S7_S7_S7_S7_S6_S4_S4_.num_vgpr, 24
	.set _ZN9rocsolver6v33100L22stebz_bisection_kernelIfPfEEv15rocblas_erange_iT_T0_iiS5_iiPiPS4_lS6_lS6_lS6_S6_S7_S7_S7_S7_S6_S4_S4_.num_agpr, 0
	.set _ZN9rocsolver6v33100L22stebz_bisection_kernelIfPfEEv15rocblas_erange_iT_T0_iiS5_iiPiPS4_lS6_lS6_lS6_S6_S7_S7_S7_S7_S6_S4_S4_.numbered_sgpr, 70
	.set _ZN9rocsolver6v33100L22stebz_bisection_kernelIfPfEEv15rocblas_erange_iT_T0_iiS5_iiPiPS4_lS6_lS6_lS6_S6_S7_S7_S7_S7_S6_S4_S4_.num_named_barrier, 0
	.set _ZN9rocsolver6v33100L22stebz_bisection_kernelIfPfEEv15rocblas_erange_iT_T0_iiS5_iiPiPS4_lS6_lS6_lS6_S6_S7_S7_S7_S7_S6_S4_S4_.private_seg_size, 0
	.set _ZN9rocsolver6v33100L22stebz_bisection_kernelIfPfEEv15rocblas_erange_iT_T0_iiS5_iiPiPS4_lS6_lS6_lS6_S6_S7_S7_S7_S7_S6_S4_S4_.uses_vcc, 1
	.set _ZN9rocsolver6v33100L22stebz_bisection_kernelIfPfEEv15rocblas_erange_iT_T0_iiS5_iiPiPS4_lS6_lS6_lS6_S6_S7_S7_S7_S7_S6_S4_S4_.uses_flat_scratch, 0
	.set _ZN9rocsolver6v33100L22stebz_bisection_kernelIfPfEEv15rocblas_erange_iT_T0_iiS5_iiPiPS4_lS6_lS6_lS6_S6_S7_S7_S7_S7_S6_S4_S4_.has_dyn_sized_stack, 0
	.set _ZN9rocsolver6v33100L22stebz_bisection_kernelIfPfEEv15rocblas_erange_iT_T0_iiS5_iiPiPS4_lS6_lS6_lS6_S6_S7_S7_S7_S7_S6_S4_S4_.has_recursion, 0
	.set _ZN9rocsolver6v33100L22stebz_bisection_kernelIfPfEEv15rocblas_erange_iT_T0_iiS5_iiPiPS4_lS6_lS6_lS6_S6_S7_S7_S7_S7_S6_S4_S4_.has_indirect_call, 0
	.section	.AMDGPU.csdata,"",@progbits
; Kernel info:
; codeLenInByte = 4016
; TotalNumSgprs: 72
; NumVgprs: 24
; ScratchSize: 0
; MemoryBound: 0
; FloatMode: 240
; IeeeMode: 1
; LDSByteSize: 4616 bytes/workgroup (compile time only)
; SGPRBlocks: 0
; VGPRBlocks: 2
; NumSGPRsForWavesPerEU: 72
; NumVGPRsForWavesPerEU: 24
; Occupancy: 16
; WaveLimiterHint : 1
; COMPUTE_PGM_RSRC2:SCRATCH_EN: 0
; COMPUTE_PGM_RSRC2:USER_SGPR: 6
; COMPUTE_PGM_RSRC2:TRAP_HANDLER: 0
; COMPUTE_PGM_RSRC2:TGID_X_EN: 1
; COMPUTE_PGM_RSRC2:TGID_Y_EN: 1
; COMPUTE_PGM_RSRC2:TGID_Z_EN: 0
; COMPUTE_PGM_RSRC2:TIDIG_COMP_CNT: 0
	.section	.text._ZN9rocsolver6v33100L22stebz_synthesis_kernelIfPfEEv15rocblas_erange_15rocblas_eorder_iiiT0_iiPiS6_PT_lS6_lS6_liS6_S8_S8_S8_S8_S6_S7_,"axG",@progbits,_ZN9rocsolver6v33100L22stebz_synthesis_kernelIfPfEEv15rocblas_erange_15rocblas_eorder_iiiT0_iiPiS6_PT_lS6_lS6_liS6_S8_S8_S8_S8_S6_S7_,comdat
	.globl	_ZN9rocsolver6v33100L22stebz_synthesis_kernelIfPfEEv15rocblas_erange_15rocblas_eorder_iiiT0_iiPiS6_PT_lS6_lS6_liS6_S8_S8_S8_S8_S6_S7_ ; -- Begin function _ZN9rocsolver6v33100L22stebz_synthesis_kernelIfPfEEv15rocblas_erange_15rocblas_eorder_iiiT0_iiPiS6_PT_lS6_lS6_liS6_S8_S8_S8_S8_S6_S7_
	.p2align	8
	.type	_ZN9rocsolver6v33100L22stebz_synthesis_kernelIfPfEEv15rocblas_erange_15rocblas_eorder_iiiT0_iiPiS6_PT_lS6_lS6_liS6_S8_S8_S8_S8_S6_S7_,@function
_ZN9rocsolver6v33100L22stebz_synthesis_kernelIfPfEEv15rocblas_erange_15rocblas_eorder_iiiT0_iiPiS6_PT_lS6_lS6_liS6_S8_S8_S8_S8_S6_S7_: ; @_ZN9rocsolver6v33100L22stebz_synthesis_kernelIfPfEEv15rocblas_erange_15rocblas_eorder_iiiT0_iiPiS6_PT_lS6_lS6_liS6_S8_S8_S8_S8_S6_S7_
; %bb.0:
	s_clause 0x1
	s_load_dword s0, s[4:5], 0xb4
	s_load_dword s1, s[4:5], 0x68
	s_waitcnt lgkmcnt(0)
	s_and_b32 s0, s0, 0xffff
	v_mad_u64_u32 v[8:9], null, s6, s0, v[0:1]
	s_mov_b32 s0, exec_lo
	v_cmpx_gt_i32_e64 s1, v8
	s_cbranch_execz .LBB6_61
; %bb.1:
	s_load_dwordx16 s[8:23], s[4:5], 0x28
	v_ashrrev_i32_e32 v9, 31, v8
	s_load_dwordx8 s[24:31], s[4:5], 0x70
	v_lshlrev_b64 v[4:5], 2, v[8:9]
	s_waitcnt lgkmcnt(0)
	v_add_co_u32 v0, vcc_lo, s10, v4
	v_add_co_ci_u32_e64 v1, null, s11, v5, vcc_lo
	v_mul_lo_u32 v6, s15, v8
	v_mul_lo_u32 v7, s14, v9
	;; [unrolled: 1-line block ×3, first 2 shown]
	global_load_dword v26, v[0:1], off
	s_clause 0x1
	s_load_dwordx4 s[36:39], s[4:5], 0x0
	s_load_dword s33, s[4:5], 0x10
	v_mad_u64_u32 v[0:1], null, s14, v8, 0
	v_mul_lo_u32 v12, s18, v9
	v_mad_u64_u32 v[2:3], null, s18, v8, 0
	v_mul_lo_u32 v13, s23, v8
	v_mul_lo_u32 v15, s22, v9
	v_mad_u64_u32 v[9:10], null, s22, v8, 0
	v_add3_u32 v1, v1, v7, v6
	v_add3_u32 v3, v3, v12, v11
	v_lshlrev_b64 v[6:7], 2, v[0:1]
	v_add3_u32 v10, v10, v15, v13
	v_lshlrev_b64 v[12:13], 2, v[2:3]
	s_waitcnt lgkmcnt(0)
	v_mul_lo_u32 v14, v8, s38
	s_cmpk_eq_i32 s36, 0xe9
	v_lshlrev_b64 v[9:10], 2, v[9:10]
	v_add_co_u32 v0, vcc_lo, s12, v6
	v_add_co_ci_u32_e64 v1, null, s13, v7, vcc_lo
	v_add_co_u32 v2, vcc_lo, s16, v12
	v_ashrrev_i32_e32 v15, 31, v14
	v_add_co_ci_u32_e64 v3, null, s17, v13, vcc_lo
	v_add_co_u32 v28, vcc_lo, s20, v9
	v_lshlrev_b64 v[14:15], 2, v[14:15]
	v_add_co_ci_u32_e64 v30, null, s21, v10, vcc_lo
	v_add_co_u32 v27, vcc_lo, s24, v14
	v_add_co_ci_u32_e64 v29, null, s25, v15, vcc_lo
	s_waitcnt vmcnt(0)
	v_cmp_gt_i32_e64 s0, 1, v26
	v_cmp_lt_i32_e32 vcc_lo, 0, v26
	s_cbranch_scc1 .LBB6_12
; %bb.2:
	v_mov_b32_e32 v10, 0
	s_and_saveexec_b32 s10, vcc_lo
	s_cbranch_execz .LBB6_14
; %bb.3:
	v_mov_b32_e32 v10, 0
	s_mov_b32 s3, 0
	s_mov_b32 s11, 0
	;; [unrolled: 1-line block ×3, first 2 shown]
	s_branch .LBB6_5
.LBB6_4:                                ;   in Loop: Header=BB6_5 Depth=1
	s_or_b32 exec_lo, exec_lo, s6
	s_add_i32 s2, s2, 1
	v_cmp_eq_u32_e32 vcc_lo, s2, v26
	s_or_b32 s11, vcc_lo, s11
	s_andn2_b32 exec_lo, exec_lo, s11
	s_cbranch_execz .LBB6_13
.LBB6_5:                                ; =>This Loop Header: Depth=1
                                        ;     Child Loop BB6_10 Depth 2
	s_cmp_eq_u32 s2, 0
	s_cbranch_scc1 .LBB6_7
; %bb.6:                                ;   in Loop: Header=BB6_5 Depth=1
	s_lshl_b64 s[6:7], s[2:3], 2
	v_add_co_u32 v14, vcc_lo, v28, s6
	v_add_co_ci_u32_e64 v15, null, s7, v30, vcc_lo
	s_mov_b64 s[6:7], s[2:3]
	global_load_dword v16, v[14:15], off offset:-4
	s_branch .LBB6_8
.LBB6_7:                                ;   in Loop: Header=BB6_5 Depth=1
	v_mov_b32_e32 v16, 0
	s_mov_b64 s[6:7], 0
.LBB6_8:                                ;   in Loop: Header=BB6_5 Depth=1
	s_lshl_b64 s[6:7], s[6:7], 2
	v_add_co_u32 v14, vcc_lo, v27, s6
	v_add_co_ci_u32_e64 v15, null, s7, v29, vcc_lo
	s_mov_b32 s6, exec_lo
	global_load_dword v9, v[14:15], off
	s_waitcnt vmcnt(0)
	v_cmpx_lt_i32_e32 0, v9
	s_cbranch_execz .LBB6_4
; %bb.9:                                ;   in Loop: Header=BB6_5 Depth=1
	v_ashrrev_i32_e32 v17, 31, v16
	v_ashrrev_i32_e32 v11, 31, v10
	v_mov_b32_e32 v21, v3
	v_mov_b32_e32 v23, v1
	;; [unrolled: 1-line block ×3, first 2 shown]
	v_lshlrev_b64 v[16:17], 2, v[16:17]
	v_lshlrev_b64 v[18:19], 2, v[10:11]
	v_mov_b32_e32 v22, v0
	s_mov_b32 s7, 0
	s_mov_b32 s14, 0
	s_inst_prefetch 0x1
	.p2align	6
.LBB6_10:                               ;   Parent Loop BB6_5 Depth=1
                                        ; =>  This Inner Loop Header: Depth=2
	v_add_co_u32 v24, vcc_lo, v20, v16
	v_add_co_ci_u32_e64 v25, null, v21, v17, vcc_lo
	s_add_i32 s14, s14, 1
	global_load_dword v9, v[24:25], off
	v_add_co_u32 v24, vcc_lo, v20, v18
	v_add_co_ci_u32_e64 v25, null, v21, v19, vcc_lo
	v_add_co_u32 v31, vcc_lo, v22, v16
	v_add_co_ci_u32_e64 v32, null, v23, v17, vcc_lo
	global_load_dword v11, v[31:32], off
	s_waitcnt vmcnt(1)
	global_store_dword v[24:25], v9, off
	global_load_dword v9, v[14:15], off
	v_add_co_u32 v24, vcc_lo, v22, v18
	v_add_co_ci_u32_e64 v25, null, v23, v19, vcc_lo
	v_add_co_u32 v22, vcc_lo, v22, 4
	v_add_co_ci_u32_e64 v23, null, 0, v23, vcc_lo
	;; [unrolled: 2-line block ×3, first 2 shown]
	s_waitcnt vmcnt(1)
	global_store_dword v[24:25], v11, off
	s_waitcnt vmcnt(0)
	v_cmp_ge_i32_e64 s1, s14, v9
	v_add_nc_u32_e32 v9, s14, v10
	s_or_b32 s7, s1, s7
	s_andn2_b32 exec_lo, exec_lo, s7
	s_cbranch_execnz .LBB6_10
; %bb.11:                               ;   in Loop: Header=BB6_5 Depth=1
	s_inst_prefetch 0x2
	s_or_b32 exec_lo, exec_lo, s7
	v_mov_b32_e32 v10, v9
	s_branch .LBB6_4
.LBB6_12:
                                        ; implicit-def: $vgpr10
	s_branch .LBB6_15
.LBB6_13:
	s_or_b32 exec_lo, exec_lo, s11
.LBB6_14:
	s_or_b32 exec_lo, exec_lo, s10
	s_cbranch_execnz .LBB6_53
.LBB6_15:
	v_add_co_u32 v9, vcc_lo, s26, v4
	v_add_co_ci_u32_e64 v10, null, s27, v5, vcc_lo
	s_load_dwordx4 s[20:23], s[4:5], 0x90
	v_lshlrev_b32_e32 v14, 1, v8
                                        ; implicit-def: $sgpr2_sgpr3
	global_load_dword v25, v[9:10], off
	v_mul_lo_u32 v10, v14, s38
	v_ashrrev_i32_e32 v11, 31, v10
	s_and_saveexec_b32 s1, s0
	s_xor_b32 s0, exec_lo, s1
; %bb.16:
	s_ashr_i32 s3, s38, 31
	s_mov_b32 s2, s38
                                        ; implicit-def: $vgpr26
                                        ; implicit-def: $vgpr27
                                        ; implicit-def: $vgpr29
                                        ; implicit-def: $vgpr28
                                        ; implicit-def: $vgpr30
                                        ; implicit-def: $vgpr12_vgpr13
; %bb.17:
	s_or_saveexec_b32 s14, s0
	v_lshlrev_b64 v[15:16], 2, v[10:11]
	v_mov_b32_e32 v11, s3
	v_mov_b32_e32 v9, 0
	;; [unrolled: 1-line block ×3, first 2 shown]
	s_xor_b32 exec_lo, exec_lo, s14
	s_cbranch_execz .LBB6_28
; %bb.18:
	v_add_co_u32 v31, vcc_lo, s12, v6
	v_add_co_ci_u32_e64 v32, null, s13, v7, vcc_lo
	v_add_co_u32 v33, vcc_lo, s16, v12
	v_add_co_ci_u32_e64 v13, null, s17, v13, vcc_lo
	s_waitcnt lgkmcnt(0)
	v_add_co_u32 v34, vcc_lo, s20, v15
	v_add_co_ci_u32_e64 v35, null, s21, v16, vcc_lo
	v_add_co_u32 v36, vcc_lo, s22, v15
	v_add_co_ci_u32_e64 v37, null, s23, v16, vcc_lo
	v_mov_b32_e32 v9, 0
	s_ashr_i32 s3, s38, 31
	s_mov_b32 s2, s38
	s_mov_b32 s11, 0
	s_lshl_b64 s[6:7], s[2:3], 2
	s_mov_b32 s15, 0
	s_mov_b32 s10, s11
	s_branch .LBB6_20
.LBB6_19:                               ;   in Loop: Header=BB6_20 Depth=1
	s_or_b32 exec_lo, exec_lo, s1
	s_add_i32 s10, s10, 1
	v_cmp_eq_u32_e32 vcc_lo, s10, v26
	s_or_b32 s15, vcc_lo, s15
	s_andn2_b32 exec_lo, exec_lo, s15
	s_cbranch_execz .LBB6_27
.LBB6_20:                               ; =>This Loop Header: Depth=1
                                        ;     Child Loop BB6_25 Depth 2
	s_cmp_eq_u32 s10, 0
	s_cbranch_scc1 .LBB6_22
; %bb.21:                               ;   in Loop: Header=BB6_20 Depth=1
	s_lshl_b64 s[0:1], s[10:11], 2
	v_add_co_u32 v10, vcc_lo, v28, s0
	v_add_co_ci_u32_e64 v11, null, s1, v30, vcc_lo
	s_mov_b64 s[0:1], s[10:11]
	global_load_dword v17, v[10:11], off offset:-4
	s_branch .LBB6_23
.LBB6_22:                               ;   in Loop: Header=BB6_20 Depth=1
	v_mov_b32_e32 v17, 0
	s_mov_b64 s[0:1], 0
.LBB6_23:                               ;   in Loop: Header=BB6_20 Depth=1
	s_lshl_b64 s[0:1], s[0:1], 2
	v_add_co_u32 v11, vcc_lo, v27, s0
	v_add_co_ci_u32_e64 v12, null, s1, v29, vcc_lo
	s_mov_b32 s1, exec_lo
	global_load_dword v10, v[11:12], off
	s_waitcnt vmcnt(0)
	v_cmpx_lt_i32_e32 0, v10
	s_cbranch_execz .LBB6_19
; %bb.24:                               ;   in Loop: Header=BB6_20 Depth=1
	v_ashrrev_i32_e32 v18, 31, v17
	v_ashrrev_i32_e32 v10, 31, v9
	s_mov_b32 s18, 0
	s_mov_b32 s19, 0
	v_lshlrev_b64 v[19:20], 2, v[17:18]
	v_lshlrev_b64 v[23:24], 2, v[9:10]
	v_add_co_u32 v17, vcc_lo, v31, v19
	v_add_co_ci_u32_e64 v18, null, v32, v20, vcc_lo
	v_add_co_u32 v19, vcc_lo, v33, v19
	v_add_co_ci_u32_e64 v20, null, v13, v20, vcc_lo
	;; [unrolled: 2-line block ×4, first 2 shown]
	s_inst_prefetch 0x1
	.p2align	6
.LBB6_25:                               ;   Parent Loop BB6_20 Depth=1
                                        ; =>  This Inner Loop Header: Depth=2
	global_load_dword v10, v[19:20], off
	v_add_co_u32 v38, vcc_lo, v21, s6
	v_add_co_ci_u32_e64 v39, null, s7, v22, vcc_lo
	s_add_i32 s19, s19, 1
	s_waitcnt vmcnt(0)
	global_store_dword v[23:24], v10, off
	global_load_dword v40, v[11:12], off
	global_load_dword v41, v[17:18], off
	v_add_co_u32 v17, vcc_lo, v17, 4
	v_add_co_ci_u32_e64 v18, null, 0, v18, vcc_lo
	v_add_co_u32 v19, vcc_lo, v19, 4
	v_add_co_ci_u32_e64 v20, null, 0, v20, vcc_lo
	v_add_co_u32 v23, s0, v23, 4
	v_add_nc_u32_e32 v10, s19, v9
	v_add_co_ci_u32_e64 v24, null, 0, v24, s0
	s_waitcnt vmcnt(0)
	global_store_dword v[21:22], v41, off
	v_add_co_u32 v21, vcc_lo, v21, 4
	v_add_co_ci_u32_e64 v22, null, 0, v22, vcc_lo
	v_cmp_ge_i32_e32 vcc_lo, s19, v40
	global_store_dword v[38:39], v41, off
	s_or_b32 s18, vcc_lo, s18
	s_andn2_b32 exec_lo, exec_lo, s18
	s_cbranch_execnz .LBB6_25
; %bb.26:                               ;   in Loop: Header=BB6_20 Depth=1
	s_inst_prefetch 0x2
	s_or_b32 exec_lo, exec_lo, s18
	v_mov_b32_e32 v9, v10
	s_branch .LBB6_19
.LBB6_27:
	s_or_b32 exec_lo, exec_lo, s15
	v_mov_b32_e32 v11, s3
	v_mov_b32_e32 v10, s2
.LBB6_28:
	s_or_b32 exec_lo, exec_lo, s14
; %bb.29:
	v_lshlrev_b64 v[10:11], 2, v[10:11]
	s_waitcnt lgkmcnt(0)
	v_add_co_u32 v24, vcc_lo, s20, v15
	v_add_co_ci_u32_e64 v26, null, s21, v16, vcc_lo
	v_add_co_u32 v27, vcc_lo, s22, v15
	v_add_co_ci_u32_e64 v28, null, s23, v16, vcc_lo
	;; [unrolled: 2-line block ×3, first 2 shown]
	s_mov_b32 s2, 1
	s_mov_b32 s1, exec_lo
	v_cmpx_lt_i32_e32 1, v9
	s_cbranch_execz .LBB6_37
; %bb.30:
	v_add_co_u32 v15, vcc_lo, v10, v15
	v_add_co_ci_u32_e64 v16, null, v11, v16, vcc_lo
	v_add_co_u32 v20, vcc_lo, v27, v10
	v_add_co_ci_u32_e64 v21, null, v28, v11, vcc_lo
	;; [unrolled: 2-line block ×3, first 2 shown]
	s_cmp_lg_u64 s[22:23], 0
	v_add_co_u32 v10, vcc_lo, v10, 4
	v_add_co_ci_u32_e64 v11, null, 0, v11, vcc_lo
	s_cselect_b32 s10, -1, 0
	s_mov_b32 s11, 0
	s_branch .LBB6_32
.LBB6_31:                               ;   in Loop: Header=BB6_32 Depth=1
	s_or_b32 exec_lo, exec_lo, s0
	s_add_i32 s2, s2, 1
	v_add_co_u32 v10, s0, v10, 4
	v_cmp_eq_u32_e32 vcc_lo, s2, v9
	v_add_co_ci_u32_e64 v11, null, 0, v11, s0
	s_or_b32 s11, vcc_lo, s11
	s_andn2_b32 exec_lo, exec_lo, s11
	s_cbranch_execz .LBB6_37
.LBB6_32:                               ; =>This Loop Header: Depth=1
                                        ;     Child Loop BB6_33 Depth 2
	s_ashr_i32 s3, s2, 31
	v_mov_b32_e32 v19, v11
	s_lshl_b64 s[6:7], s[2:3], 2
	s_add_i32 s3, s2, -1
	v_add_co_u32 v15, vcc_lo, v12, s6
	v_add_co_ci_u32_e64 v16, null, s7, v13, vcc_lo
	v_mov_b32_e32 v17, s3
	v_mov_b32_e32 v18, v10
	s_mov_b32 s14, 0
	global_load_dword v22, v[15:16], off offset:-4
	s_mov_b32 s15, s2
	s_waitcnt vmcnt(0)
	v_mov_b32_e32 v23, v22
.LBB6_33:                               ;   Parent Loop BB6_32 Depth=1
                                        ; =>  This Inner Loop Header: Depth=2
	global_load_dword v29, v[18:19], off
	v_add_co_u32 v18, s0, v18, 4
	v_add_co_ci_u32_e64 v19, null, 0, v19, s0
	s_waitcnt vmcnt(0)
	v_cmp_lt_f32_e32 vcc_lo, v29, v23
	v_cndmask_b32_e64 v17, v17, s15, vcc_lo
	s_add_i32 s15, s15, 1
	v_cndmask_b32_e32 v23, v23, v29, vcc_lo
	v_cmp_eq_u32_e32 vcc_lo, s15, v9
	s_or_b32 s14, vcc_lo, s14
	s_andn2_b32 exec_lo, exec_lo, s14
	s_cbranch_execnz .LBB6_33
; %bb.34:                               ;   in Loop: Header=BB6_32 Depth=1
	s_or_b32 exec_lo, exec_lo, s14
	s_mov_b32 s0, exec_lo
	v_cmpx_ne_u32_e64 s3, v17
	s_cbranch_execz .LBB6_31
; %bb.35:                               ;   in Loop: Header=BB6_32 Depth=1
	v_ashrrev_i32_e32 v18, 31, v17
	v_lshlrev_b64 v[17:18], 2, v[17:18]
	v_add_co_u32 v29, vcc_lo, v12, v17
	v_add_co_ci_u32_e64 v30, null, v13, v18, vcc_lo
	s_andn2_b32 vcc_lo, exec_lo, s10
	global_store_dword v[29:30], v22, off
	global_store_dword v[15:16], v23, off offset:-4
	s_cbranch_vccnz .LBB6_31
; %bb.36:                               ;   in Loop: Header=BB6_32 Depth=1
	v_add_co_u32 v15, vcc_lo, v20, s6
	v_add_co_ci_u32_e64 v16, null, s7, v21, vcc_lo
	v_add_co_u32 v17, vcc_lo, v20, v17
	v_add_co_ci_u32_e64 v18, null, v21, v18, vcc_lo
	s_clause 0x1
	global_load_dword v19, v[15:16], off offset:-4
	global_load_dword v22, v[17:18], off
	s_waitcnt vmcnt(1)
	global_store_dword v[17:18], v19, off
	s_waitcnt vmcnt(0)
	global_store_dword v[15:16], v22, off offset:-4
	s_branch .LBB6_31
.LBB6_37:
	s_or_b32 exec_lo, exec_lo, s1
	v_mov_b32_e32 v10, 0
	s_mov_b32 s6, exec_lo
	v_cmpx_lt_i32_e32 0, v9
	s_cbranch_execz .LBB6_52
; %bb.38:
	s_load_dwordx4 s[0:3], s[4:5], 0x18
	s_add_i32 s7, s38, -1
	v_ashrrev_i32_e32 v15, 31, v14
	v_mul_lo_u32 v10, v8, s7
	v_add_nc_u32_e32 v29, -1, v9
	v_lshlrev_b64 v[14:15], 2, v[14:15]
	v_ashrrev_i32_e32 v11, 31, v10
	v_lshlrev_b64 v[10:11], 2, v[10:11]
	s_waitcnt lgkmcnt(0)
	v_mad_i64_i32 v[16:17], null, v8, s3, 0
	s_ashr_i32 s5, s2, 31
	s_mov_b32 s4, s2
	v_add_co_u32 v8, vcc_lo, s30, v14
	s_lshl_b64 s[2:3], s[4:5], 2
	v_add_co_ci_u32_e64 v30, null, s31, v15, vcc_lo
	v_lshlrev_b64 v[16:17], 2, v[16:17]
	s_cmp_gt_i32 s38, 1
	v_add_co_u32 v14, vcc_lo, s28, v10
	v_add_co_ci_u32_e64 v15, null, s29, v11, vcc_lo
	s_cselect_b32 s10, -1, 0
	s_add_u32 s4, s0, s2
	v_add_co_u32 v10, vcc_lo, s0, v16
	s_addc_u32 s5, s1, s3
	v_add_co_ci_u32_e64 v11, null, s1, v17, vcc_lo
	v_add_co_u32 v18, vcc_lo, s4, v16
	v_add_co_ci_u32_e64 v19, null, s5, v17, vcc_lo
	v_add_co_u32 v16, vcc_lo, v10, s2
	;; [unrolled: 2-line block ×3, first 2 shown]
	v_add_co_ci_u32_e64 v19, null, 0, v19, vcc_lo
	v_mov_b32_e32 v10, 0
	s_mov_b32 s3, 0
	s_mov_b32 s1, 0
	;; [unrolled: 1-line block ×3, first 2 shown]
	s_branch .LBB6_41
.LBB6_39:                               ;   in Loop: Header=BB6_41 Depth=1
	s_or_b32 exec_lo, exec_lo, s0
.LBB6_40:                               ;   in Loop: Header=BB6_41 Depth=1
	s_or_b32 exec_lo, exec_lo, s11
	s_add_i32 s2, s2, 1
	v_cmp_eq_u32_e32 vcc_lo, s2, v9
	s_or_b32 s1, vcc_lo, s1
	s_andn2_b32 exec_lo, exec_lo, s1
	s_cbranch_execz .LBB6_51
.LBB6_41:                               ; =>This Loop Header: Depth=1
                                        ;     Child Loop BB6_43 Depth 2
                                        ;     Child Loop BB6_48 Depth 2
	s_lshl_b64 s[4:5], s[2:3], 2
	v_mov_b32_e32 v23, v13
	v_add_co_u32 v20, vcc_lo, v24, s4
	v_add_co_ci_u32_e64 v21, null, s5, v26, vcc_lo
	v_mov_b32_e32 v22, v12
	s_mov_b32 s11, s3
	s_mov_b32 s19, s3
	global_load_dword v31, v[20:21], off
                                        ; implicit-def: $sgpr14
                                        ; implicit-def: $sgpr18
                                        ; implicit-def: $sgpr15
	s_inst_prefetch 0x1
	s_branch .LBB6_43
	.p2align	6
.LBB6_42:                               ;   in Loop: Header=BB6_43 Depth=2
	s_or_b32 exec_lo, exec_lo, s21
	s_and_b32 s0, exec_lo, s18
	v_mov_b32_e32 v32, s19
	s_or_b32 s11, s0, s11
	s_andn2_b32 s0, s14, exec_lo
	s_and_b32 s14, s15, exec_lo
	s_mov_b32 s19, s20
	s_or_b32 s14, s0, s14
	s_andn2_b32 exec_lo, exec_lo, s11
	s_cbranch_execz .LBB6_45
.LBB6_43:                               ;   Parent Loop BB6_41 Depth=1
                                        ; =>  This Inner Loop Header: Depth=2
	global_load_dword v11, v[22:23], off
	v_mov_b32_e32 v20, v22
	v_mov_b32_e32 v21, v23
	s_or_b32 s15, s15, exec_lo
	s_or_b32 s18, s18, exec_lo
	s_mov_b32 s21, exec_lo
                                        ; implicit-def: $sgpr20
                                        ; implicit-def: $vgpr22_vgpr23
	s_waitcnt vmcnt(0)
	v_cmpx_neq_f32_e32 v31, v11
	s_cbranch_execz .LBB6_42
; %bb.44:                               ;   in Loop: Header=BB6_43 Depth=2
	s_add_i32 s20, s19, 1
	v_add_co_u32 v22, s0, v20, 4
	v_cmp_eq_u32_e32 vcc_lo, s20, v9
	v_add_co_ci_u32_e64 v23, null, 0, v21, s0
	s_andn2_b32 s0, s18, exec_lo
	s_andn2_b32 s15, s15, exec_lo
	s_and_b32 s18, vcc_lo, exec_lo
	s_or_b32 s18, s0, s18
	s_branch .LBB6_42
.LBB6_45:                               ;   in Loop: Header=BB6_41 Depth=1
	s_inst_prefetch 0x2
	s_or_b32 exec_lo, exec_lo, s11
	s_and_saveexec_b32 s0, s14
	s_xor_b32 s11, exec_lo, s0
	s_cbranch_execz .LBB6_40
; %bb.46:                               ;   in Loop: Header=BB6_41 Depth=1
	v_cmp_eq_u32_e32 vcc_lo, v32, v29
	v_cndmask_b32_e32 v21, v21, v30, vcc_lo
	v_cndmask_b32_e32 v20, v20, v8, vcc_lo
	s_andn2_b32 vcc_lo, exec_lo, s10
	global_load_dword v20, v[20:21], off offset:4
	global_load_dword v21, v[16:17], off
	s_waitcnt vmcnt(1)
	v_sub_f32_e32 v11, v20, v11
	v_fma_f32 v32, 0.5, v11, v31
	s_waitcnt vmcnt(0)
	v_sub_f32_e32 v22, v21, v32
	v_cmp_le_f32_e64 s0, v22, v25
	v_cndmask_b32_e64 v11, 0, 1, s0
	s_cbranch_vccnz .LBB6_49
; %bb.47:                               ;   in Loop: Header=BB6_41 Depth=1
	v_cmp_gt_f32_e64 s14, v22, -v25
	v_mov_b32_e32 v21, v15
	v_mov_b32_e32 v20, v14
	s_and_b32 s0, s0, s14
	s_mov_b32 s14, s7
	v_cndmask_b32_e64 v33, v22, -v25, s0
	v_mov_b32_e32 v23, v19
	v_mov_b32_e32 v22, v18
	s_inst_prefetch 0x1
	.p2align	6
.LBB6_48:                               ;   Parent Loop BB6_41 Depth=1
                                        ; =>  This Inner Loop Header: Depth=2
	global_load_dword v34, v[20:21], off
	global_load_dword v35, v[22:23], off
	s_add_i32 s14, s14, -1
	s_waitcnt vmcnt(1)
	v_div_scale_f32 v36, null, v33, v33, v34
	v_div_scale_f32 v39, vcc_lo, v34, v33, v34
	s_waitcnt vmcnt(0)
	v_sub_f32_e32 v35, v35, v32
	v_rcp_f32_e32 v37, v36
	v_fma_f32 v38, -v36, v37, 1.0
	v_fmac_f32_e32 v37, v38, v37
	v_mul_f32_e32 v38, v39, v37
	v_fma_f32 v40, -v36, v38, v39
	v_fmac_f32_e32 v38, v40, v37
	v_fma_f32 v36, -v36, v38, v39
	v_div_fmas_f32 v36, v36, v37, v38
	v_add_co_u32 v22, vcc_lo, v22, 4
	v_add_co_ci_u32_e64 v23, null, 0, v23, vcc_lo
	v_div_fixup_f32 v33, v36, v33, v34
	v_add_co_u32 v20, vcc_lo, v20, 4
	v_add_co_ci_u32_e64 v21, null, 0, v21, vcc_lo
	v_sub_f32_e32 v33, v35, v33
	v_cmp_le_f32_e64 s0, v33, v25
	v_cmp_gt_f32_e64 s15, v33, -v25
	v_add_co_ci_u32_e64 v11, null, 0, v11, s0
	s_and_b32 s0, s0, s15
	s_cmp_lg_u32 s14, 0
	v_cndmask_b32_e64 v33, v33, -v25, s0
	s_cbranch_scc1 .LBB6_48
.LBB6_49:                               ;   in Loop: Header=BB6_41 Depth=1
	s_inst_prefetch 0x2
	v_cmp_le_i32_e32 vcc_lo, s39, v11
	v_cmp_ge_i32_e64 s0, s33, v11
	s_and_b32 s14, vcc_lo, s0
	s_and_saveexec_b32 s0, s14
	s_cbranch_execz .LBB6_39
; %bb.50:                               ;   in Loop: Header=BB6_41 Depth=1
	v_add_co_u32 v20, vcc_lo, v27, s4
	v_add_co_ci_u32_e64 v21, null, s5, v28, vcc_lo
	v_ashrrev_i32_e32 v11, 31, v10
	global_load_dword v32, v[20:21], off
	v_lshlrev_b64 v[20:21], 2, v[10:11]
	v_add_nc_u32_e32 v10, 1, v10
	v_add_co_u32 v22, vcc_lo, v0, v20
	v_add_co_ci_u32_e64 v23, null, v1, v21, vcc_lo
	v_add_co_u32 v20, vcc_lo, v2, v20
	v_add_co_ci_u32_e64 v21, null, v3, v21, vcc_lo
	global_store_dword v[22:23], v31, off
	s_waitcnt vmcnt(0)
	global_store_dword v[20:21], v32, off
	s_branch .LBB6_39
.LBB6_51:
	s_or_b32 exec_lo, exec_lo, s1
.LBB6_52:
	s_or_b32 exec_lo, exec_lo, s6
.LBB6_53:
	v_add_co_u32 v4, vcc_lo, s8, v4
	v_add_co_ci_u32_e64 v5, null, s9, v5, vcc_lo
	v_cmp_lt_i32_e32 vcc_lo, 1, v10
	s_cmpk_eq_i32 s37, 0xf2
	s_mov_b32 s2, 1
	s_cselect_b32 s0, -1, 0
	global_store_dword v[4:5], v10, off
	s_and_b32 s0, s0, vcc_lo
	s_and_b32 exec_lo, exec_lo, s0
	s_cbranch_execz .LBB6_61
; %bb.54:
	v_add_co_u32 v4, vcc_lo, s12, v6
	v_add_co_ci_u32_e64 v5, null, s13, v7, vcc_lo
	s_cmp_lg_u64 s[16:17], 0
	v_add_co_u32 v4, vcc_lo, v4, 4
	v_add_co_ci_u32_e64 v5, null, 0, v5, vcc_lo
	s_cselect_b32 s1, -1, 0
	s_mov_b32 s6, 0
	s_branch .LBB6_56
.LBB6_55:                               ;   in Loop: Header=BB6_56 Depth=1
	s_or_b32 exec_lo, exec_lo, s0
	s_add_i32 s2, s2, 1
	v_add_co_u32 v4, s0, v4, 4
	v_cmp_eq_u32_e32 vcc_lo, s2, v10
	v_add_co_ci_u32_e64 v5, null, 0, v5, s0
	s_or_b32 s6, vcc_lo, s6
	s_andn2_b32 exec_lo, exec_lo, s6
	s_cbranch_execz .LBB6_61
.LBB6_56:                               ; =>This Loop Header: Depth=1
                                        ;     Child Loop BB6_57 Depth 2
	s_ashr_i32 s3, s2, 31
	v_mov_b32_e32 v12, v5
	s_lshl_b64 s[4:5], s[2:3], 2
	s_add_i32 s3, s2, -1
	v_add_co_u32 v6, vcc_lo, v0, s4
	v_add_co_ci_u32_e64 v7, null, s5, v1, vcc_lo
	v_mov_b32_e32 v8, s3
	v_mov_b32_e32 v11, v4
	s_mov_b32 s7, 0
	global_load_dword v13, v[6:7], off offset:-4
	s_mov_b32 s8, s2
	s_waitcnt vmcnt(0)
	v_mov_b32_e32 v14, v13
.LBB6_57:                               ;   Parent Loop BB6_56 Depth=1
                                        ; =>  This Inner Loop Header: Depth=2
	global_load_dword v9, v[11:12], off
	v_add_co_u32 v11, s0, v11, 4
	v_add_co_ci_u32_e64 v12, null, 0, v12, s0
	s_waitcnt vmcnt(0)
	v_cmp_lt_f32_e32 vcc_lo, v9, v14
	v_cndmask_b32_e64 v8, v8, s8, vcc_lo
	s_add_i32 s8, s8, 1
	v_cndmask_b32_e32 v14, v14, v9, vcc_lo
	v_cmp_eq_u32_e32 vcc_lo, s8, v10
	s_or_b32 s7, vcc_lo, s7
	s_andn2_b32 exec_lo, exec_lo, s7
	s_cbranch_execnz .LBB6_57
; %bb.58:                               ;   in Loop: Header=BB6_56 Depth=1
	s_or_b32 exec_lo, exec_lo, s7
	s_mov_b32 s0, exec_lo
	v_cmpx_ne_u32_e64 s3, v8
	s_cbranch_execz .LBB6_55
; %bb.59:                               ;   in Loop: Header=BB6_56 Depth=1
	v_ashrrev_i32_e32 v9, 31, v8
	v_lshlrev_b64 v[8:9], 2, v[8:9]
	v_add_co_u32 v11, vcc_lo, v0, v8
	v_add_co_ci_u32_e64 v12, null, v1, v9, vcc_lo
	s_andn2_b32 vcc_lo, exec_lo, s1
	global_store_dword v[11:12], v13, off
	global_store_dword v[6:7], v14, off offset:-4
	s_cbranch_vccnz .LBB6_55
; %bb.60:                               ;   in Loop: Header=BB6_56 Depth=1
	v_add_co_u32 v6, vcc_lo, v2, s4
	v_add_co_ci_u32_e64 v7, null, s5, v3, vcc_lo
	v_add_co_u32 v8, vcc_lo, v2, v8
	v_add_co_ci_u32_e64 v9, null, v3, v9, vcc_lo
	s_clause 0x1
	global_load_dword v11, v[6:7], off offset:-4
	global_load_dword v12, v[8:9], off
	s_waitcnt vmcnt(1)
	global_store_dword v[8:9], v11, off
	s_waitcnt vmcnt(0)
	global_store_dword v[6:7], v12, off offset:-4
	s_branch .LBB6_55
.LBB6_61:
	s_endpgm
	.section	.rodata,"a",@progbits
	.p2align	6, 0x0
	.amdhsa_kernel _ZN9rocsolver6v33100L22stebz_synthesis_kernelIfPfEEv15rocblas_erange_15rocblas_eorder_iiiT0_iiPiS6_PT_lS6_lS6_liS6_S8_S8_S8_S8_S6_S7_
		.amdhsa_group_segment_fixed_size 0
		.amdhsa_private_segment_fixed_size 0
		.amdhsa_kernarg_size 424
		.amdhsa_user_sgpr_count 6
		.amdhsa_user_sgpr_private_segment_buffer 1
		.amdhsa_user_sgpr_dispatch_ptr 0
		.amdhsa_user_sgpr_queue_ptr 0
		.amdhsa_user_sgpr_kernarg_segment_ptr 1
		.amdhsa_user_sgpr_dispatch_id 0
		.amdhsa_user_sgpr_flat_scratch_init 0
		.amdhsa_user_sgpr_private_segment_size 0
		.amdhsa_wavefront_size32 1
		.amdhsa_uses_dynamic_stack 0
		.amdhsa_system_sgpr_private_segment_wavefront_offset 0
		.amdhsa_system_sgpr_workgroup_id_x 1
		.amdhsa_system_sgpr_workgroup_id_y 0
		.amdhsa_system_sgpr_workgroup_id_z 0
		.amdhsa_system_sgpr_workgroup_info 0
		.amdhsa_system_vgpr_workitem_id 0
		.amdhsa_next_free_vgpr 42
		.amdhsa_next_free_sgpr 40
		.amdhsa_reserve_vcc 1
		.amdhsa_reserve_flat_scratch 0
		.amdhsa_float_round_mode_32 0
		.amdhsa_float_round_mode_16_64 0
		.amdhsa_float_denorm_mode_32 3
		.amdhsa_float_denorm_mode_16_64 3
		.amdhsa_dx10_clamp 1
		.amdhsa_ieee_mode 1
		.amdhsa_fp16_overflow 0
		.amdhsa_workgroup_processor_mode 1
		.amdhsa_memory_ordered 1
		.amdhsa_forward_progress 1
		.amdhsa_shared_vgpr_count 0
		.amdhsa_exception_fp_ieee_invalid_op 0
		.amdhsa_exception_fp_denorm_src 0
		.amdhsa_exception_fp_ieee_div_zero 0
		.amdhsa_exception_fp_ieee_overflow 0
		.amdhsa_exception_fp_ieee_underflow 0
		.amdhsa_exception_fp_ieee_inexact 0
		.amdhsa_exception_int_div_zero 0
	.end_amdhsa_kernel
	.section	.text._ZN9rocsolver6v33100L22stebz_synthesis_kernelIfPfEEv15rocblas_erange_15rocblas_eorder_iiiT0_iiPiS6_PT_lS6_lS6_liS6_S8_S8_S8_S8_S6_S7_,"axG",@progbits,_ZN9rocsolver6v33100L22stebz_synthesis_kernelIfPfEEv15rocblas_erange_15rocblas_eorder_iiiT0_iiPiS6_PT_lS6_lS6_liS6_S8_S8_S8_S8_S6_S7_,comdat
.Lfunc_end6:
	.size	_ZN9rocsolver6v33100L22stebz_synthesis_kernelIfPfEEv15rocblas_erange_15rocblas_eorder_iiiT0_iiPiS6_PT_lS6_lS6_liS6_S8_S8_S8_S8_S6_S7_, .Lfunc_end6-_ZN9rocsolver6v33100L22stebz_synthesis_kernelIfPfEEv15rocblas_erange_15rocblas_eorder_iiiT0_iiPiS6_PT_lS6_lS6_liS6_S8_S8_S8_S8_S6_S7_
                                        ; -- End function
	.set _ZN9rocsolver6v33100L22stebz_synthesis_kernelIfPfEEv15rocblas_erange_15rocblas_eorder_iiiT0_iiPiS6_PT_lS6_lS6_liS6_S8_S8_S8_S8_S6_S7_.num_vgpr, 42
	.set _ZN9rocsolver6v33100L22stebz_synthesis_kernelIfPfEEv15rocblas_erange_15rocblas_eorder_iiiT0_iiPiS6_PT_lS6_lS6_liS6_S8_S8_S8_S8_S6_S7_.num_agpr, 0
	.set _ZN9rocsolver6v33100L22stebz_synthesis_kernelIfPfEEv15rocblas_erange_15rocblas_eorder_iiiT0_iiPiS6_PT_lS6_lS6_liS6_S8_S8_S8_S8_S6_S7_.numbered_sgpr, 40
	.set _ZN9rocsolver6v33100L22stebz_synthesis_kernelIfPfEEv15rocblas_erange_15rocblas_eorder_iiiT0_iiPiS6_PT_lS6_lS6_liS6_S8_S8_S8_S8_S6_S7_.num_named_barrier, 0
	.set _ZN9rocsolver6v33100L22stebz_synthesis_kernelIfPfEEv15rocblas_erange_15rocblas_eorder_iiiT0_iiPiS6_PT_lS6_lS6_liS6_S8_S8_S8_S8_S6_S7_.private_seg_size, 0
	.set _ZN9rocsolver6v33100L22stebz_synthesis_kernelIfPfEEv15rocblas_erange_15rocblas_eorder_iiiT0_iiPiS6_PT_lS6_lS6_liS6_S8_S8_S8_S8_S6_S7_.uses_vcc, 1
	.set _ZN9rocsolver6v33100L22stebz_synthesis_kernelIfPfEEv15rocblas_erange_15rocblas_eorder_iiiT0_iiPiS6_PT_lS6_lS6_liS6_S8_S8_S8_S8_S6_S7_.uses_flat_scratch, 0
	.set _ZN9rocsolver6v33100L22stebz_synthesis_kernelIfPfEEv15rocblas_erange_15rocblas_eorder_iiiT0_iiPiS6_PT_lS6_lS6_liS6_S8_S8_S8_S8_S6_S7_.has_dyn_sized_stack, 0
	.set _ZN9rocsolver6v33100L22stebz_synthesis_kernelIfPfEEv15rocblas_erange_15rocblas_eorder_iiiT0_iiPiS6_PT_lS6_lS6_liS6_S8_S8_S8_S8_S6_S7_.has_recursion, 0
	.set _ZN9rocsolver6v33100L22stebz_synthesis_kernelIfPfEEv15rocblas_erange_15rocblas_eorder_iiiT0_iiPiS6_PT_lS6_lS6_liS6_S8_S8_S8_S8_S6_S7_.has_indirect_call, 0
	.section	.AMDGPU.csdata,"",@progbits
; Kernel info:
; codeLenInByte = 3300
; TotalNumSgprs: 42
; NumVgprs: 42
; ScratchSize: 0
; MemoryBound: 0
; FloatMode: 240
; IeeeMode: 1
; LDSByteSize: 0 bytes/workgroup (compile time only)
; SGPRBlocks: 0
; VGPRBlocks: 5
; NumSGPRsForWavesPerEU: 42
; NumVGPRsForWavesPerEU: 42
; Occupancy: 16
; WaveLimiterHint : 1
; COMPUTE_PGM_RSRC2:SCRATCH_EN: 0
; COMPUTE_PGM_RSRC2:USER_SGPR: 6
; COMPUTE_PGM_RSRC2:TRAP_HANDLER: 0
; COMPUTE_PGM_RSRC2:TGID_X_EN: 1
; COMPUTE_PGM_RSRC2:TGID_Y_EN: 0
; COMPUTE_PGM_RSRC2:TGID_Z_EN: 0
; COMPUTE_PGM_RSRC2:TIDIG_COMP_CNT: 0
	.section	.text._ZN9rocsolver6v33100L15bdsvdx_abs_eigsIfEEviPiPT_lS4_,"axG",@progbits,_ZN9rocsolver6v33100L15bdsvdx_abs_eigsIfEEviPiPT_lS4_,comdat
	.globl	_ZN9rocsolver6v33100L15bdsvdx_abs_eigsIfEEviPiPT_lS4_ ; -- Begin function _ZN9rocsolver6v33100L15bdsvdx_abs_eigsIfEEviPiPT_lS4_
	.p2align	8
	.type	_ZN9rocsolver6v33100L15bdsvdx_abs_eigsIfEEviPiPT_lS4_,@function
_ZN9rocsolver6v33100L15bdsvdx_abs_eigsIfEEviPiPT_lS4_: ; @_ZN9rocsolver6v33100L15bdsvdx_abs_eigsIfEEviPiPT_lS4_
; %bb.0:
	s_load_dwordx8 s[8:15], s[4:5], 0x8
	s_mov_b32 s0, s7
	s_ashr_i32 s1, s7, 31
	s_lshl_b64 s[2:3], s[0:1], 2
	s_waitcnt lgkmcnt(0)
	s_add_u32 s2, s8, s2
	s_addc_u32 s3, s9, s3
	s_load_dword s7, s[4:5], 0x0
	s_load_dword s8, s[2:3], 0x0
	;; [unrolled: 1-line block ×3, first 2 shown]
	s_waitcnt lgkmcnt(0)
	s_cmp_le_i32 s8, s7
	s_cbranch_scc1 .LBB7_2
; %bb.1:
	v_mov_b32_e32 v1, 0
	v_mov_b32_e32 v2, s7
	s_mov_b32 s8, s7
	global_store_dword v1, v2, s[2:3]
.LBB7_2:
	s_and_b32 s2, 0xffff, s4
	v_mad_u64_u32 v[0:1], null, s6, s2, v[0:1]
	s_mov_b32 s2, exec_lo
	v_cmpx_gt_i32_e64 s8, v0
	s_cbranch_execz .LBB7_4
; %bb.3:
	s_mul_i32 s1, s12, s1
	s_mul_hi_u32 s2, s12, s0
	s_mul_i32 s3, s13, s0
	s_add_i32 s1, s2, s1
	s_mul_i32 s2, s12, s0
	s_add_i32 s3, s1, s3
	v_ashrrev_i32_e32 v1, 31, v0
	s_lshl_b64 s[2:3], s[2:3], 2
	s_mul_i32 s0, s0, s7
	s_add_u32 s2, s10, s2
	s_addc_u32 s3, s11, s3
	s_lshl_b32 s0, s0, 1
	v_lshlrev_b64 v[0:1], 2, v[0:1]
	s_ashr_i32 s1, s0, 31
	s_lshl_b64 s[0:1], s[0:1], 2
	s_add_u32 s0, s14, s0
	s_addc_u32 s1, s15, s1
	v_add_co_u32 v2, vcc_lo, s0, v0
	v_add_co_ci_u32_e64 v3, null, s1, v1, vcc_lo
	v_add_co_u32 v0, vcc_lo, s2, v0
	v_add_co_ci_u32_e64 v1, null, s3, v1, vcc_lo
	global_load_dword v2, v[2:3], off
	s_waitcnt vmcnt(0)
	v_xor_b32_e32 v2, 0x80000000, v2
	global_store_dword v[0:1], v2, off
.LBB7_4:
	s_endpgm
	.section	.rodata,"a",@progbits
	.p2align	6, 0x0
	.amdhsa_kernel _ZN9rocsolver6v33100L15bdsvdx_abs_eigsIfEEviPiPT_lS4_
		.amdhsa_group_segment_fixed_size 0
		.amdhsa_private_segment_fixed_size 0
		.amdhsa_kernarg_size 296
		.amdhsa_user_sgpr_count 6
		.amdhsa_user_sgpr_private_segment_buffer 1
		.amdhsa_user_sgpr_dispatch_ptr 0
		.amdhsa_user_sgpr_queue_ptr 0
		.amdhsa_user_sgpr_kernarg_segment_ptr 1
		.amdhsa_user_sgpr_dispatch_id 0
		.amdhsa_user_sgpr_flat_scratch_init 0
		.amdhsa_user_sgpr_private_segment_size 0
		.amdhsa_wavefront_size32 1
		.amdhsa_uses_dynamic_stack 0
		.amdhsa_system_sgpr_private_segment_wavefront_offset 0
		.amdhsa_system_sgpr_workgroup_id_x 1
		.amdhsa_system_sgpr_workgroup_id_y 1
		.amdhsa_system_sgpr_workgroup_id_z 0
		.amdhsa_system_sgpr_workgroup_info 0
		.amdhsa_system_vgpr_workitem_id 0
		.amdhsa_next_free_vgpr 4
		.amdhsa_next_free_sgpr 16
		.amdhsa_reserve_vcc 1
		.amdhsa_reserve_flat_scratch 0
		.amdhsa_float_round_mode_32 0
		.amdhsa_float_round_mode_16_64 0
		.amdhsa_float_denorm_mode_32 3
		.amdhsa_float_denorm_mode_16_64 3
		.amdhsa_dx10_clamp 1
		.amdhsa_ieee_mode 1
		.amdhsa_fp16_overflow 0
		.amdhsa_workgroup_processor_mode 1
		.amdhsa_memory_ordered 1
		.amdhsa_forward_progress 1
		.amdhsa_shared_vgpr_count 0
		.amdhsa_exception_fp_ieee_invalid_op 0
		.amdhsa_exception_fp_denorm_src 0
		.amdhsa_exception_fp_ieee_div_zero 0
		.amdhsa_exception_fp_ieee_overflow 0
		.amdhsa_exception_fp_ieee_underflow 0
		.amdhsa_exception_fp_ieee_inexact 0
		.amdhsa_exception_int_div_zero 0
	.end_amdhsa_kernel
	.section	.text._ZN9rocsolver6v33100L15bdsvdx_abs_eigsIfEEviPiPT_lS4_,"axG",@progbits,_ZN9rocsolver6v33100L15bdsvdx_abs_eigsIfEEviPiPT_lS4_,comdat
.Lfunc_end7:
	.size	_ZN9rocsolver6v33100L15bdsvdx_abs_eigsIfEEviPiPT_lS4_, .Lfunc_end7-_ZN9rocsolver6v33100L15bdsvdx_abs_eigsIfEEviPiPT_lS4_
                                        ; -- End function
	.set _ZN9rocsolver6v33100L15bdsvdx_abs_eigsIfEEviPiPT_lS4_.num_vgpr, 4
	.set _ZN9rocsolver6v33100L15bdsvdx_abs_eigsIfEEviPiPT_lS4_.num_agpr, 0
	.set _ZN9rocsolver6v33100L15bdsvdx_abs_eigsIfEEviPiPT_lS4_.numbered_sgpr, 16
	.set _ZN9rocsolver6v33100L15bdsvdx_abs_eigsIfEEviPiPT_lS4_.num_named_barrier, 0
	.set _ZN9rocsolver6v33100L15bdsvdx_abs_eigsIfEEviPiPT_lS4_.private_seg_size, 0
	.set _ZN9rocsolver6v33100L15bdsvdx_abs_eigsIfEEviPiPT_lS4_.uses_vcc, 1
	.set _ZN9rocsolver6v33100L15bdsvdx_abs_eigsIfEEviPiPT_lS4_.uses_flat_scratch, 0
	.set _ZN9rocsolver6v33100L15bdsvdx_abs_eigsIfEEviPiPT_lS4_.has_dyn_sized_stack, 0
	.set _ZN9rocsolver6v33100L15bdsvdx_abs_eigsIfEEviPiPT_lS4_.has_recursion, 0
	.set _ZN9rocsolver6v33100L15bdsvdx_abs_eigsIfEEviPiPT_lS4_.has_indirect_call, 0
	.section	.AMDGPU.csdata,"",@progbits
; Kernel info:
; codeLenInByte = 256
; TotalNumSgprs: 18
; NumVgprs: 4
; ScratchSize: 0
; MemoryBound: 0
; FloatMode: 240
; IeeeMode: 1
; LDSByteSize: 0 bytes/workgroup (compile time only)
; SGPRBlocks: 0
; VGPRBlocks: 0
; NumSGPRsForWavesPerEU: 18
; NumVGPRsForWavesPerEU: 4
; Occupancy: 16
; WaveLimiterHint : 0
; COMPUTE_PGM_RSRC2:SCRATCH_EN: 0
; COMPUTE_PGM_RSRC2:USER_SGPR: 6
; COMPUTE_PGM_RSRC2:TRAP_HANDLER: 0
; COMPUTE_PGM_RSRC2:TGID_X_EN: 1
; COMPUTE_PGM_RSRC2:TGID_Y_EN: 1
; COMPUTE_PGM_RSRC2:TGID_Z_EN: 0
; COMPUTE_PGM_RSRC2:TIDIG_COMP_CNT: 0
	.section	.text._ZN9rocsolver6v33100L12stein_kernelIffPfEEviPT0_lS4_lPiS4_lS5_lS5_lT1_iilS5_lS5_S4_S5_S3_S3_,"axG",@progbits,_ZN9rocsolver6v33100L12stein_kernelIffPfEEviPT0_lS4_lPiS4_lS5_lS5_lT1_iilS5_lS5_S4_S5_S3_S3_,comdat
	.globl	_ZN9rocsolver6v33100L12stein_kernelIffPfEEviPT0_lS4_lPiS4_lS5_lS5_lT1_iilS5_lS5_S4_S5_S3_S3_ ; -- Begin function _ZN9rocsolver6v33100L12stein_kernelIffPfEEviPT0_lS4_lPiS4_lS5_lS5_lT1_iilS5_lS5_S4_S5_S3_S3_
	.p2align	8
	.type	_ZN9rocsolver6v33100L12stein_kernelIffPfEEviPT0_lS4_lPiS4_lS5_lS5_lT1_iilS5_lS5_S4_S5_S3_S3_,@function
_ZN9rocsolver6v33100L12stein_kernelIffPfEEviPT0_lS4_lPiS4_lS5_lS5_lT1_iilS5_lS5_S4_S5_S3_S3_: ; @_ZN9rocsolver6v33100L12stein_kernelIffPfEEviPT0_lS4_lPiS4_lS5_lS5_lT1_iilS5_lS5_S4_S5_S3_S3_
; %bb.0:
	s_load_dwordx16 s[8:23], s[4:5], 0x8
	s_mov_b32 s2, s7
	s_ashr_i32 s3, s7, 31
	s_lshl_b64 s[34:35], s[2:3], 2
	s_waitcnt lgkmcnt(0)
	s_add_u32 s0, s16, s34
	s_addc_u32 s1, s17, s35
	s_load_dword s16, s[0:1], 0x0
	s_waitcnt lgkmcnt(0)
	s_cmp_lt_i32 s16, 1
	s_cbranch_scc1 .LBB8_254
; %bb.1:
	s_clause 0x1
	s_load_dwordx8 s[24:31], s[4:5], 0x70
	s_load_dwordx4 s[44:47], s[4:5], 0x90
	s_mov_b64 s[48:49], 0
	s_waitcnt lgkmcnt(0)
	s_cmp_eq_u64 s[26:27], 0
	s_cbranch_scc1 .LBB8_3
; %bb.2:
	s_mul_i32 s0, s28, s3
	s_mul_hi_u32 s1, s28, s2
	s_mul_i32 s6, s29, s2
	s_add_i32 s0, s1, s0
	s_add_i32 s1, s0, s6
	s_mul_i32 s0, s28, s2
	s_lshl_b64 s[0:1], s[0:1], 2
	s_add_u32 s48, s26, s0
	s_addc_u32 s49, s27, s1
.LBB8_3:
	v_cmp_eq_u32_e64 s0, 0, v0
	s_and_saveexec_b32 s1, s0
; %bb.4:
	v_mov_b32_e32 v1, 0
	ds_write_b32 v1, v1
; %bb.5:
	s_or_b32 exec_lo, exec_lo, s1
	v_cmp_gt_u32_e32 vcc_lo, s16, v0
	s_cmp_lg_u64 s[48:49], 0
	v_lshlrev_b32_e32 v5, 2, v0
	s_cselect_b32 s26, -1, 0
	s_and_b32 s1, vcc_lo, s26
	s_and_saveexec_b32 s6, s1
	s_cbranch_execz .LBB8_8
; %bb.6:
	v_add_co_u32 v1, s1, s48, v5
	v_mov_b32_e32 v3, 0
	v_add_co_ci_u32_e64 v2, null, s49, 0, s1
	v_mov_b32_e32 v4, v0
	s_mov_b32 s7, 0
.LBB8_7:                                ; =>This Inner Loop Header: Depth=1
	v_add_nc_u32_e32 v4, 0x100, v4
	global_store_dword v[1:2], v3, off
	v_add_co_u32 v1, s1, 0x400, v1
	v_add_co_ci_u32_e64 v2, null, 0, v2, s1
	v_cmp_le_i32_e32 vcc_lo, s16, v4
	s_or_b32 s7, vcc_lo, s7
	s_andn2_b32 exec_lo, exec_lo, s7
	s_cbranch_execnz .LBB8_7
.LBB8_8:
	s_or_b32 exec_lo, exec_lo, s6
	s_load_dwordx8 s[36:43], s[4:5], 0x48
	s_mov_b32 s27, 0
	v_mov_b32_e32 v2, 0
	s_mov_b32 s17, s27
	s_waitcnt lgkmcnt(0)
	s_mul_i32 s1, s36, s3
	s_mul_hi_u32 s6, s36, s2
	s_mul_i32 s7, s37, s2
	s_add_i32 s1, s6, s1
	s_mul_i32 s6, s36, s2
	s_add_i32 s7, s1, s7
	s_lshl_b64 s[6:7], s[6:7], 2
	s_add_u32 s33, s22, s6
	s_addc_u32 s78, s23, s7
	s_lshl_b64 s[6:7], s[16:17], 2
	s_add_u32 s22, s33, s6
	s_addc_u32 s23, s78, s7
	global_load_dword v1, v2, s[22:23] offset:-4
	s_waitcnt vmcnt(0)
	v_cmp_gt_i32_e32 vcc_lo, 1, v1
	s_cbranch_vccnz .LBB8_252
; %bb.9:
	s_mul_i32 s1, s10, s3
	s_mul_hi_u32 s7, s10, s2
	s_load_dword s28, s[4:5], 0x0
	s_mul_i32 s11, s11, s2
	s_add_i32 s1, s7, s1
	s_mul_i32 s6, s10, s2
	s_mul_i32 s37, s14, s3
	s_mul_hi_u32 s50, s14, s2
	s_mul_i32 s51, s15, s2
	s_mul_i32 s36, s14, s2
	s_add_i32 s7, s1, s11
	s_clause 0x1
	s_load_dwordx2 s[10:11], s[4:5], 0x68
	s_load_dwordx2 s[14:15], s[4:5], 0xa0
	s_lshl_b64 s[4:5], s[6:7], 2
	s_mul_i32 s52, s20, s3
	s_mul_hi_u32 s53, s20, s2
	v_add_nc_u32_e32 v22, 8, v5
	v_mov_b32_e32 v24, 1.0
	v_mov_b32_e32 v25, 1
	v_mov_b32_e32 v26, 8
	s_mov_b32 s93, 0
                                        ; implicit-def: $vgpr28
                                        ; implicit-def: $vgpr29
                                        ; implicit-def: $vgpr30
                                        ; implicit-def: $sgpr55
                                        ; implicit-def: $vgpr27
	s_waitcnt lgkmcnt(0)
	s_ashr_i32 s29, s28, 31
	s_add_u32 s17, s8, s4
	s_addc_u32 s79, s9, s5
	s_add_i32 s1, s50, s37
	s_mul_i32 s5, s21, s2
	s_add_i32 s37, s1, s51
	s_mul_i32 s4, s20, s2
	s_lshl_b64 s[6:7], s[36:37], 2
	s_mul_i32 s1, s40, s3
	v_div_scale_f32 v3, null, s15, s15, 1.0
	s_add_u32 s80, s12, s6
	s_addc_u32 s81, s13, s7
	s_add_i32 s6, s53, s52
	v_rcp_f32_e32 v4, v3
	s_add_i32 s5, s6, s5
	s_mul_hi_u32 s7, s40, s2
	s_lshl_b64 s[4:5], s[4:5], 2
	s_mul_i32 s8, s41, s2
	s_add_u32 s82, s18, s4
	s_addc_u32 s83, s19, s5
	s_add_i32 s1, s7, s1
	s_mul_i32 s6, s40, s2
	s_add_i32 s7, s1, s8
	v_fma_f32 v6, -v3, v4, 1.0
	s_mul_i32 s4, s28, 5
	s_lshl_b64 s[6:7], s[6:7], 2
	s_mul_hi_i32 s5, s4, s2
	s_mul_i32 s4, s4, s2
	s_add_u32 s84, s38, s6
	v_fmac_f32_e32 v4, v6, v4
	v_div_scale_f32 v6, vcc_lo, 1.0, s15, 1.0
	s_addc_u32 s85, s39, s7
	s_lshl_b64 s[6:7], s[4:5], 2
	s_mul_hi_i32 s5, s28, s2
	s_mul_i32 s4, s28, s2
	s_add_u32 s12, s44, s6
	s_addc_u32 s13, s45, s7
	s_lshl_b64 s[4:5], s[4:5], 2
	s_mul_i32 s1, s24, s3
	s_mul_hi_u32 s3, s24, s2
	v_mul_f32_e32 v7, v6, v4
	s_add_u32 s18, s46, s4
	s_addc_u32 s19, s47, s5
	s_add_i32 s1, s3, s1
	s_mul_i32 s3, s25, s2
	s_mul_i32 s2, s24, s2
	s_add_i32 s3, s1, s3
	v_fma_f32 v8, -v3, v7, v6
	s_lshl_b64 s[2:3], s[2:3], 2
	s_ashr_i32 s5, s10, 31
	s_mov_b32 s4, s10
	s_add_u32 s1, s42, s2
	s_addc_u32 s8, s43, s3
	s_lshl_b64 s[2:3], s[4:5], 2
	s_mul_i32 s20, s28, 3
	v_fmac_f32_e32 v7, v8, v4
	s_add_u32 s10, s1, s2
	s_addc_u32 s86, s8, s3
	s_ashr_i32 s21, s20, 31
	v_max_f32_e64 v8, s14, s14
	s_lshl_b64 s[8:9], s[20:21], 2
	v_fma_f32 v3, -v3, v7, v6
	v_add_nc_u32_e32 v6, s28, v0
	s_add_u32 s24, s12, s8
	s_addc_u32 s25, s13, s9
	s_lshl_b64 s[2:3], s[28:29], 3
	v_div_fmas_f32 v3, v3, v4, v7
	s_sub_u32 s21, 0, s2
	s_subb_u32 s87, 0, s3
	v_ashrrev_i32_e32 v7, 31, v6
	s_add_u32 s36, s24, s21
	s_addc_u32 s37, s25, s87
	s_lshl_b64 s[4:5], s[28:29], 2
	v_div_fixup_f32 v23, v3, s15, 1.0
	s_add_u32 s38, s36, s4
	s_addc_u32 s39, s37, s5
	v_lshlrev_b64 v[6:7], 2, v[6:7]
	s_add_u32 s40, s38, s2
	s_addc_u32 s41, s39, s3
	s_and_b32 s29, s0, s26
	s_add_u32 s88, s80, 4
	s_addc_u32 s89, s81, 0
	s_add_u32 s90, s17, 4
	v_add_co_u32 v3, s5, s12, v5
	v_max_f32_e32 v21, 0, v8
	s_addc_u32 s91, s79, 0
	v_add_co_u32 v8, vcc_lo, s12, v6
	v_add_co_ci_u32_e64 v4, null, s13, 0, s5
	s_add_u32 s5, s6, s8
	s_addc_u32 s6, s7, s9
	v_add_co_ci_u32_e64 v9, null, s13, v7, vcc_lo
	s_add_u32 s5, s44, s5
	s_addc_u32 s6, s45, s6
	v_add_co_u32 v5, s7, s5, v5
	v_add_co_u32 v7, vcc_lo, v8, 4
	s_lshl_b32 s92, s28, 1
	v_cmp_gt_u32_e64 s1, 0x80, v0
	v_cmp_gt_u32_e64 s2, 64, v0
	;; [unrolled: 1-line block ×3, first 2 shown]
	v_cmp_gt_i32_e64 s4, s28, v0
	v_add_co_ci_u32_e64 v6, null, s6, 0, s7
	v_add_co_ci_u32_e64 v8, null, 0, v9, vcc_lo
	s_add_u32 s42, s5, 8
	s_addc_u32 s43, s6, 0
	s_add_u32 s44, s12, 4
	s_mov_b32 s46, 0x9999999a
	s_mov_b32 s50, 0xff800000
	s_addc_u32 s45, s13, 0
	s_mov_b32 s47, 0x3fb99999
	s_mov_b32 s51, 0x41dfffff
	s_mov_b32 s52, s27
	s_branch .LBB8_12
.LBB8_10:                               ;   in Loop: Header=BB8_12 Depth=1
	global_load_dword v1, v2, s[22:23] offset:-4
	s_mov_b32 s93, s8
.LBB8_11:                               ;   in Loop: Header=BB8_12 Depth=1
	s_add_i32 s52, s52, 1
	s_waitcnt vmcnt(0)
	v_cmp_ge_i32_e32 vcc_lo, s52, v1
	s_cbranch_vccnz .LBB8_252
.LBB8_12:                               ; =>This Loop Header: Depth=1
                                        ;     Child Loop BB8_17 Depth 2
                                        ;     Child Loop BB8_21 Depth 2
                                        ;       Child Loop BB8_31 Depth 3
                                        ;       Child Loop BB8_34 Depth 3
	;; [unrolled: 1-line block ×5, first 2 shown]
                                        ;         Child Loop BB8_105 Depth 4
                                        ;         Child Loop BB8_108 Depth 4
                                        ;         Child Loop BB8_111 Depth 4
                                        ;         Child Loop BB8_118 Depth 4
                                        ;           Child Loop BB8_124 Depth 5
                                        ;         Child Loop BB8_138 Depth 4
                                        ;           Child Loop BB8_139 Depth 5
                                        ;           Child Loop BB8_141 Depth 5
                                        ;         Child Loop BB8_146 Depth 4
                                        ;       Child Loop BB8_189 Depth 3
                                        ;       Child Loop BB8_228 Depth 3
	;; [unrolled: 1-line block ×4, first 2 shown]
	s_mov_b32 s54, 0
	s_cmp_eq_u32 s52, 0
	s_mov_b64 s[6:7], 0
	s_cbranch_scc1 .LBB8_14
; %bb.13:                               ;   in Loop: Header=BB8_12 Depth=1
	s_mov_b32 s53, s27
	s_lshl_b64 s[6:7], s[52:53], 2
	s_add_u32 s6, s84, s6
	s_addc_u32 s7, s85, s7
	global_load_dword v9, v2, s[6:7] offset:-4
	s_mov_b64 s[6:7], s[52:53]
	s_waitcnt vmcnt(0)
	v_readfirstlane_b32 s54, v9
.LBB8_14:                               ;   in Loop: Header=BB8_12 Depth=1
	s_lshl_b64 s[6:7], s[6:7], 2
	s_add_u32 s6, s84, s6
	s_addc_u32 s7, s85, s7
	s_not_b32 s5, s54
	global_load_dword v9, v2, s[6:7]
	s_waitcnt vmcnt(0)
	v_readfirstlane_b32 s56, v9
	s_add_i32 s58, s5, s56
	s_sub_i32 s53, s56, s54
	s_cmp_lt_i32 s58, 1
	s_cselect_b32 s94, -1, 0
	s_and_b32 vcc_lo, exec_lo, s94
	s_cbranch_vccnz .LBB8_19
; %bb.15:                               ;   in Loop: Header=BB8_12 Depth=1
	s_ashr_i32 s55, s54, 31
	s_lshl_b64 s[8:9], s[54:55], 2
	s_add_u32 s6, s17, s8
	s_addc_u32 s7, s79, s9
	s_add_u32 s60, s80, s8
	s_addc_u32 s61, s81, s9
	s_ashr_i32 s57, s56, 31
	s_lshl_b64 s[62:63], s[56:57], 2
	s_add_u32 s64, s17, s62
	s_addc_u32 s65, s79, s63
	s_add_i32 s5, s56, -2
	s_add_u32 s62, s80, s62
	s_addc_u32 s63, s81, s63
	s_clause 0x3
	global_load_dword v10, v2, s[6:7]
	global_load_dword v9, v2, s[60:61]
	global_load_dword v11, v2, s[64:65] offset:-4
	global_load_dword v12, v2, s[62:63] offset:-8
	s_cmp_ge_i32 s54, s5
	s_waitcnt vmcnt(2)
	v_add_f32_e64 v10, |v10|, |v9|
	s_waitcnt vmcnt(0)
	v_add_f32_e64 v11, |v11|, |v12|
	v_cmp_lt_f32_e32 vcc_lo, v10, v11
	v_cndmask_b32_e32 v27, v10, v11, vcc_lo
	s_cbranch_scc1 .LBB8_18
; %bb.16:                               ;   in Loop: Header=BB8_12 Depth=1
	s_add_u32 s6, s88, s8
	s_addc_u32 s7, s89, s9
	s_add_u32 s8, s90, s8
	s_addc_u32 s9, s91, s9
	s_mov_b32 s26, s54
	.p2align	6
.LBB8_17:                               ;   Parent Loop BB8_12 Depth=1
                                        ; =>  This Inner Loop Header: Depth=2
	global_load_dword v10, v2, s[8:9]
	s_add_i32 s26, s26, 1
	s_waitcnt vmcnt(0)
	v_add_f32_e64 v10, |v9|, |v10|
	global_load_dword v9, v2, s[6:7]
	s_add_u32 s6, s6, 4
	s_addc_u32 s7, s7, 0
	s_add_u32 s8, s8, 4
	s_addc_u32 s9, s9, 0
	s_cmp_lt_i32 s26, s5
	s_waitcnt vmcnt(0)
	v_add_f32_e64 v10, v10, |v9|
	v_cmp_lt_f32_e32 vcc_lo, v27, v10
	v_cndmask_b32_e32 v27, v27, v10, vcc_lo
	s_cbranch_scc1 .LBB8_17
.LBB8_18:                               ;   in Loop: Header=BB8_12 Depth=1
	v_cvt_f64_u32_e32 v[9:10], s53
	v_mul_f32_e32 v30, 0x3a83126f, v27
	s_mov_b32 s55, s93
	v_div_scale_f64 v[11:12], null, v[9:10], v[9:10], s[46:47]
	v_div_scale_f64 v[17:18], vcc_lo, s[46:47], v[9:10], s[46:47]
	v_rcp_f64_e32 v[13:14], v[11:12]
	v_fma_f64 v[15:16], -v[11:12], v[13:14], 1.0
	v_fma_f64 v[13:14], v[13:14], v[15:16], v[13:14]
	v_fma_f64 v[15:16], -v[11:12], v[13:14], 1.0
	v_fma_f64 v[13:14], v[13:14], v[15:16], v[13:14]
	v_mul_f64 v[15:16], v[17:18], v[13:14]
	v_fma_f64 v[11:12], -v[11:12], v[15:16], v[17:18]
	v_div_fmas_f64 v[11:12], v[11:12], v[13:14], v[15:16]
	v_div_fixup_f64 v[9:10], v[11:12], v[9:10], s[46:47]
	v_cmp_gt_f64_e32 vcc_lo, 0x10000000, v[9:10]
	s_and_b32 s5, vcc_lo, exec_lo
	s_cselect_b32 s5, 0x100, 0
	v_ldexp_f64 v[9:10], v[9:10], s5
	s_cselect_b32 s5, 0xffffff80, 0
	v_rsq_f64_e32 v[11:12], v[9:10]
	v_cmp_class_f64_e64 vcc_lo, v[9:10], 0x260
	v_mul_f64 v[13:14], v[9:10], v[11:12]
	v_mul_f64 v[11:12], v[11:12], 0.5
	v_fma_f64 v[15:16], -v[11:12], v[13:14], 0.5
	v_fma_f64 v[13:14], v[13:14], v[15:16], v[13:14]
	v_fma_f64 v[11:12], v[11:12], v[15:16], v[11:12]
	v_fma_f64 v[15:16], -v[13:14], v[13:14], v[9:10]
	v_fma_f64 v[13:14], v[15:16], v[11:12], v[13:14]
	v_fma_f64 v[15:16], -v[13:14], v[13:14], v[9:10]
	v_fma_f64 v[11:12], v[15:16], v[11:12], v[13:14]
	v_ldexp_f64 v[11:12], v[11:12], s5
	v_cndmask_b32_e32 v10, v12, v10, vcc_lo
	v_cndmask_b32_e32 v9, v11, v9, vcc_lo
	v_cvt_f32_f64_e32 v29, v[9:10]
.LBB8_19:                               ;   in Loop: Header=BB8_12 Depth=1
	s_cmp_ge_i32 s93, s16
	s_cbranch_scc1 .LBB8_11
; %bb.20:                               ;   in Loop: Header=BB8_12 Depth=1
	v_add_nc_u32_e32 v9, s54, v0
	s_ashr_i32 s57, s56, 31
	s_mov_b32 s59, s27
	s_lshl_b64 s[6:7], s[56:57], 2
	v_cvt_f32_u32_e32 v1, s53
	v_ashrrev_i32_e32 v10, 31, v9
	s_add_u32 s60, s17, s6
	s_addc_u32 s61, s79, s7
	s_add_i32 s6, s58, s20
	v_cmp_ge_i32_e64 s5, s58, v0
	s_ashr_i32 s7, s6, 31
	v_lshlrev_b64 v[11:12], 2, v[9:10]
	s_lshl_b64 s[6:7], s[6:7], 2
	v_mul_f32_e32 v31, v27, v1
	s_add_u32 s62, s12, s6
	s_addc_u32 s63, s13, s7
	s_lshl_b64 s[8:9], s[58:59], 2
	v_add_co_u32 v9, vcc_lo, s17, v11
	s_add_u32 s64, s18, s8
	s_addc_u32 s65, s19, s9
	s_add_i32 s59, s58, -1
	v_add_co_ci_u32_e64 v10, null, s79, v12, vcc_lo
	v_add_co_u32 v11, vcc_lo, s80, v11
	s_add_u32 s66, s24, s8
	v_cmp_gt_i32_e64 s6, s58, v0
	s_addc_u32 s67, s25, s9
	v_cmp_gt_u32_e64 s7, s53, v0
	v_add_co_ci_u32_e64 v12, null, s81, v12, vcc_lo
	v_mov_b32_e32 v1, v28
	s_cmp_gt_u32 s53, 2
	s_mul_i32 s57, s52, s16
	s_cselect_b32 s95, -1, 0
	s_mov_b32 s97, 0
	s_sub_i32 s96, 0, s54
	s_mul_i32 s98, s11, s93
	s_mov_b32 s68, s93
.LBB8_21:                               ;   Parent Loop BB8_12 Depth=1
                                        ; =>  This Loop Header: Depth=2
                                        ;       Child Loop BB8_31 Depth 3
                                        ;       Child Loop BB8_34 Depth 3
	;; [unrolled: 1-line block ×5, first 2 shown]
                                        ;         Child Loop BB8_105 Depth 4
                                        ;         Child Loop BB8_108 Depth 4
                                        ;         Child Loop BB8_111 Depth 4
                                        ;         Child Loop BB8_118 Depth 4
                                        ;           Child Loop BB8_124 Depth 5
                                        ;         Child Loop BB8_138 Depth 4
                                        ;           Child Loop BB8_139 Depth 5
                                        ;           Child Loop BB8_141 Depth 5
                                        ;         Child Loop BB8_146 Depth 4
                                        ;       Child Loop BB8_189 Depth 3
                                        ;       Child Loop BB8_228 Depth 3
	;; [unrolled: 1-line block ×4, first 2 shown]
	s_ashr_i32 s69, s68, 31
	s_mov_b32 s26, -1
	s_lshl_b64 s[8:9], s[68:69], 2
	s_add_u32 s70, s33, s8
	s_addc_u32 s71, s78, s9
	global_load_dword v13, v2, s[70:71]
	s_waitcnt vmcnt(0)
	v_add_nc_u32_e32 v13, -1, v13
	v_cmp_ne_u32_e32 vcc_lo, s52, v13
	s_cbranch_vccnz .LBB8_25
; %bb.22:                               ;   in Loop: Header=BB8_21 Depth=2
	s_add_u32 s8, s82, s8
	s_addc_u32 s9, s83, s9
	s_and_b32 vcc_lo, exec_lo, s94
	global_load_dword v28, v2, s[8:9]
	s_mov_b32 s8, -1
	s_cbranch_vccnz .LBB8_26
; %bb.23:                               ;   in Loop: Header=BB8_21 Depth=2
	s_and_b32 vcc_lo, exec_lo, s8
	s_cbranch_vccnz .LBB8_29
.LBB8_24:                               ;   in Loop: Header=BB8_21 Depth=2
	s_waitcnt vmcnt(0)
	s_waitcnt_vscnt null, 0x0
	buffer_gl0_inv
	s_and_saveexec_b32 s9, s4
	s_cbranch_execnz .LBB8_246
	s_branch .LBB8_250
.LBB8_25:                               ;   in Loop: Header=BB8_21 Depth=2
	v_mov_b32_e32 v28, v1
	s_mov_b32 s8, s68
                                        ; implicit-def: $sgpr97
                                        ; implicit-def: $sgpr98
	s_and_b32 vcc_lo, exec_lo, s26
	s_cbranch_vccz .LBB8_251
	s_branch .LBB8_10
.LBB8_26:                               ;   in Loop: Header=BB8_21 Depth=2
	s_and_saveexec_b32 s8, s0
	s_cbranch_execz .LBB8_28
; %bb.27:                               ;   in Loop: Header=BB8_21 Depth=2
	global_store_dword v2, v24, s[12:13]
.LBB8_28:                               ;   in Loop: Header=BB8_21 Depth=2
	s_or_b32 exec_lo, exec_lo, s8
	s_waitcnt vmcnt(0)
	s_waitcnt_vscnt null, 0x0
	s_barrier
	s_branch .LBB8_24
.LBB8_29:                               ;   in Loop: Header=BB8_21 Depth=2
	s_and_saveexec_b32 s9, s5
	s_cbranch_execz .LBB8_32
; %bb.30:                               ;   in Loop: Header=BB8_21 Depth=2
	s_add_i32 s8, s68, s57
	s_mov_b32 s26, 0
	v_lshl_or_b32 v15, s8, 8, v0
	v_add_nc_u32_e32 v13, 1, v15
	v_sub_nc_u32_e32 v17, 0x7ffffffe, v15
	v_mul_hi_i32 v14, 0x40000001, v13
	v_cmp_gt_u32_e32 vcc_lo, 0x7fffff07, v17
	v_lshrrev_b32_e32 v16, 31, v14
	v_ashrrev_i32_e32 v14, 29, v14
	v_add_nc_u32_e32 v14, v14, v16
	v_sub_nc_u32_e32 v16, 0xf7, v15
	v_mul_lo_u32 v14, 0x7fffffff, v14
	v_max_u32_e32 v16, 1, v16
	v_cndmask_b32_e32 v16, v16, v17, vcc_lo
	v_cmp_ne_u32_e32 vcc_lo, 0x7ffffffe, v15
	v_sub_nc_u32_e32 v17, v13, v14
	v_mov_b32_e32 v14, v4
	v_mov_b32_e32 v13, v3
	;; [unrolled: 1-line block ×3, first 2 shown]
	v_cndmask_b32_e32 v16, 1, v16, vcc_lo
	v_max_i32_e32 v17, 1, v17
.LBB8_31:                               ;   Parent Loop BB8_12 Depth=1
                                        ;     Parent Loop BB8_21 Depth=2
                                        ; =>    This Inner Loop Header: Depth=3
	v_mul_hi_i32 v18, 0x5e4789c9, v17
	v_mul_hi_i32 v19, 0x4f7a09cd, v16
	v_add_nc_u32_e32 v15, 0x100, v15
	v_lshrrev_b32_e32 v20, 31, v18
	v_ashrrev_i32_e32 v18, 14, v18
	v_lshrrev_b32_e32 v32, 31, v19
	v_ashrrev_i32_e32 v19, 14, v19
	v_add_nc_u32_e32 v18, v18, v20
	v_add_nc_u32_e32 v19, v19, v32
	v_mul_i32_i24_e32 v20, 0xadc8, v18
	v_mul_i32_i24_e32 v32, 0xce26, v19
	v_sub_nc_u32_e32 v17, v17, v20
	v_sub_nc_u32_e32 v16, v16, v32
	v_mul_lo_u32 v17, 0xbc8f, v17
	v_mul_lo_u32 v16, 0x9ef4, v16
	v_mad_i32_i24 v17, 0xfffff2b9, v18, v17
	v_mad_i32_i24 v16, 0xfffff131, v19, v16
	v_ashrrev_i32_e32 v18, 31, v17
	v_ashrrev_i32_e32 v19, 31, v16
	v_and_b32_e32 v18, 0x7fffffff, v18
	v_and_b32_e32 v19, 0x7fffff07, v19
	v_add_nc_u32_e32 v17, v18, v17
	v_add_nc_u32_e32 v16, v19, v16
	v_sub_nc_u32_e32 v18, v17, v16
	v_ashrrev_i32_e32 v19, 31, v18
	v_and_b32_e32 v19, 0x7fffffff, v19
	v_add_nc_u32_e32 v18, v19, v18
	v_cvt_f64_i32_e32 v[18:19], v18
	v_div_scale_f64 v[32:33], null, s[50:51], s[50:51], v[18:19]
	v_div_scale_f64 v[38:39], vcc_lo, v[18:19], s[50:51], v[18:19]
	v_rcp_f64_e32 v[34:35], v[32:33]
	v_fma_f64 v[36:37], -v[32:33], v[34:35], 1.0
	v_fma_f64 v[34:35], v[34:35], v[36:37], v[34:35]
	v_fma_f64 v[36:37], -v[32:33], v[34:35], 1.0
	v_fma_f64 v[34:35], v[34:35], v[36:37], v[34:35]
	v_mul_f64 v[36:37], v[38:39], v[34:35]
	v_fma_f64 v[32:33], -v[32:33], v[36:37], v[38:39]
	v_div_fmas_f64 v[32:33], v[32:33], v[34:35], v[36:37]
	v_cmp_lt_i32_e32 vcc_lo, s58, v15
	s_or_b32 s26, vcc_lo, s26
	v_div_fixup_f64 v[18:19], v[32:33], s[50:51], v[18:19]
	v_cvt_f32_f64_e32 v18, v[18:19]
	global_store_dword v[13:14], v18, off
	v_add_co_u32 v13, s8, 0x400, v13
	v_add_co_ci_u32_e64 v14, null, 0, v14, s8
	s_andn2_b32 exec_lo, exec_lo, s26
	s_cbranch_execnz .LBB8_31
.LBB8_32:                               ;   in Loop: Header=BB8_21 Depth=2
	s_or_b32 exec_lo, exec_lo, s9
	s_and_saveexec_b32 s9, s6
	s_cbranch_execz .LBB8_35
; %bb.33:                               ;   in Loop: Header=BB8_21 Depth=2
	v_mov_b32_e32 v14, v12
	v_mov_b32_e32 v16, v10
	;; [unrolled: 1-line block ×9, first 2 shown]
	s_mov_b32 s26, 0
	s_inst_prefetch 0x1
	.p2align	6
.LBB8_34:                               ;   Parent Loop BB8_12 Depth=1
                                        ;     Parent Loop BB8_21 Depth=2
                                        ; =>    This Inner Loop Header: Depth=3
	global_load_dword v33, v[15:16], off
	v_add_co_u32 v15, vcc_lo, 0x400, v15
	v_add_co_ci_u32_e64 v16, null, 0, v16, vcc_lo
	s_waitcnt vmcnt(0)
	global_store_dword v[19:20], v33, off
	global_load_dword v35, v[13:14], off
	v_add_nc_u32_e32 v33, s92, v32
	v_add_nc_u32_e32 v32, 0x100, v32
	v_ashrrev_i32_e32 v34, 31, v33
	v_cmp_le_i32_e32 vcc_lo, s58, v32
	v_lshlrev_b64 v[33:34], 2, v[33:34]
	s_or_b32 s26, vcc_lo, s26
	v_add_co_u32 v33, s8, s12, v33
	v_add_co_ci_u32_e64 v34, null, s13, v34, s8
	v_add_co_u32 v19, s8, 0x400, v19
	v_add_co_ci_u32_e64 v20, null, 0, v20, s8
	;; [unrolled: 2-line block ×3, first 2 shown]
	s_waitcnt vmcnt(0)
	global_store_dword v[33:34], v35, off
	global_store_dword v[17:18], v35, off
	v_add_co_u32 v17, s8, 0x400, v17
	v_add_co_ci_u32_e64 v18, null, 0, v18, s8
	s_andn2_b32 exec_lo, exec_lo, s26
	s_cbranch_execnz .LBB8_34
.LBB8_35:                               ;   in Loop: Header=BB8_21 Depth=2
	s_inst_prefetch 0x2
	s_or_b32 exec_lo, exec_lo, s9
	s_and_saveexec_b32 s8, s0
	s_cbranch_execz .LBB8_37
; %bb.36:                               ;   in Loop: Header=BB8_21 Depth=2
	global_load_dword v13, v2, s[60:61] offset:-4
	s_waitcnt vmcnt(0)
	global_store_dword v2, v13, s[62:63]
.LBB8_37:                               ;   in Loop: Header=BB8_21 Depth=2
	s_or_b32 exec_lo, exec_lo, s8
	s_waitcnt vmcnt(0)
	v_mul_f32_e32 v13, s14, v28
	v_sub_f32_e32 v14, v28, v1
	s_cmp_lg_u32 s97, 0
	s_waitcnt_vscnt null, 0x0
	s_cselect_b32 s69, -1, 0
	v_mul_f32_e64 v15, 0x41200000, |v13|
	v_fma_f32 v13, 0x41200000, |v13|, v1
	s_cmp_eq_u32 s97, 0
	s_barrier
	buffer_gl0_inv
	v_cmp_lt_f32_e32 vcc_lo, v14, v15
	v_cndmask_b32_e32 v13, v28, v13, vcc_lo
	s_cselect_b32 vcc_lo, -1, 0
	v_cndmask_b32_e32 v28, v13, v28, vcc_lo
	s_and_saveexec_b32 s26, s0
	s_cbranch_execz .LBB8_64
; %bb.38:                               ;   in Loop: Header=BB8_21 Depth=2
	global_load_dword v13, v2, s[24:25]
	s_mov_b64 s[8:9], 0
	s_mov_b32 s99, 1
	global_store_dword v2, v2, s[64:65]
	s_waitcnt vmcnt(0)
	v_sub_f32_e32 v13, v13, v28
	global_store_dword v2, v13, s[24:25]
	global_load_dword v14, v2, s[36:37] offset:4
	s_waitcnt vmcnt(0)
	v_add_f32_e64 v13, |v13|, |v14|
	s_branch .LBB8_40
.LBB8_39:                               ;   in Loop: Header=BB8_40 Depth=3
	s_add_u32 s8, s8, 4
	s_addc_u32 s9, s9, 0
	s_add_i32 s99, s99, 1
	s_cmp_eq_u32 s53, s99
	s_cbranch_scc1 .LBB8_61
.LBB8_40:                               ;   Parent Loop BB8_12 Depth=1
                                        ;     Parent Loop BB8_21 Depth=2
                                        ; =>    This Inner Loop Header: Depth=3
	s_add_i32 s74, s99, -1
	s_add_u32 s72, s24, s8
	s_addc_u32 s73, s25, s9
	s_add_u32 s70, s38, s8
	global_load_dword v14, v2, s[72:73] offset:4
	s_addc_u32 s71, s39, s9
	s_cmp_lt_u32 s74, s59
	s_cselect_b32 s104, -1, 0
	s_cmp_ge_u32 s74, s59
	s_waitcnt vmcnt(0)
	v_sub_f32_e32 v16, v14, v28
	global_store_dword v2, v16, s[72:73] offset:4
	global_load_dword v17, v2, s[70:71]
	s_waitcnt vmcnt(0)
	v_add_f32_e64 v14, |v16|, |v17|
	s_cbranch_scc1 .LBB8_42
; %bb.41:                               ;   in Loop: Header=BB8_40 Depth=3
	s_add_u32 s74, s36, s8
	s_addc_u32 s75, s37, s9
	global_load_dword v15, v2, s[74:75] offset:8
	s_waitcnt vmcnt(0)
	v_add_f32_e64 v14, v14, |v15|
.LBB8_42:                               ;   in Loop: Header=BB8_40 Depth=3
	global_load_dword v19, v2, s[72:73]
	s_waitcnt vmcnt(0)
	v_cmp_eq_f32_e32 vcc_lo, 0, v19
	s_cbranch_vccnz .LBB8_53
; %bb.43:                               ;   in Loop: Header=BB8_40 Depth=3
	v_and_b32_e32 v15, 0x7fffffff, v19
	v_div_scale_f32 v18, null, v13, v13, v15
	v_div_scale_f32 v15, vcc_lo, v15, v13, v15
	v_rcp_f32_e32 v20, v18
	v_fma_f32 v32, -v18, v20, 1.0
	v_fmac_f32_e32 v20, v32, v20
	v_mul_f32_e32 v32, v15, v20
	v_fma_f32 v33, -v18, v32, v15
	v_fmac_f32_e32 v32, v33, v20
	v_fma_f32 v15, -v18, v32, v15
	v_div_fmas_f32 v15, v15, v20, v32
	v_div_fixup_f32 v15, v15, v13, |v19|
	v_cmp_neq_f32_e32 vcc_lo, 0, v17
	s_cbranch_vccz .LBB8_54
.LBB8_44:                               ;   in Loop: Header=BB8_40 Depth=3
	v_and_b32_e32 v18, 0x7fffffff, v17
	s_add_u32 s74, s18, s8
	s_addc_u32 s75, s19, s9
	s_mov_b32 s76, -1
	v_div_scale_f32 v20, null, v14, v14, v18
	v_div_scale_f32 v18, vcc_lo, v18, v14, v18
	v_rcp_f32_e32 v32, v20
	v_fma_f32 v33, -v20, v32, 1.0
	v_fmac_f32_e32 v32, v33, v32
	v_mul_f32_e32 v33, v18, v32
	v_fma_f32 v34, -v20, v33, v18
	v_fmac_f32_e32 v33, v34, v32
	v_fma_f32 v18, -v20, v33, v18
	v_div_fmas_f32 v18, v18, v32, v33
	v_div_fixup_f32 v18, v18, v14, |v17|
	v_cmp_nle_f32_e32 vcc_lo, v18, v15
	s_cbranch_vccnz .LBB8_48
; %bb.45:                               ;   in Loop: Header=BB8_40 Depth=3
	v_div_scale_f32 v20, null, v19, v19, v17
	v_div_scale_f32 v34, vcc_lo, v17, v19, v17
	s_add_u32 s76, s36, s8
	v_rcp_f32_e32 v32, v20
	s_addc_u32 s77, s37, s9
	v_fma_f32 v33, -v20, v32, 1.0
	v_fmac_f32_e32 v32, v33, v32
	v_mul_f32_e32 v33, v34, v32
	v_fma_f32 v35, -v20, v33, v34
	v_fmac_f32_e32 v33, v35, v32
	v_fma_f32 v20, -v20, v33, v34
	v_div_fmas_f32 v20, v20, v32, v33
	s_andn2_b32 vcc_lo, exec_lo, s104
	v_div_fixup_f32 v20, v20, v19, v17
	global_store_dword v2, v20, s[70:71]
	s_clause 0x1
	global_load_dword v32, v2, s[72:73] offset:4
	global_load_dword v33, v2, s[76:77] offset:4
	s_waitcnt vmcnt(0)
	v_fma_f32 v20, -v20, v33, v32
	global_store_dword v2, v2, s[74:75]
	global_store_dword v2, v20, s[72:73] offset:4
	s_cbranch_vccnz .LBB8_47
; %bb.46:                               ;   in Loop: Header=BB8_40 Depth=3
	s_add_u32 s76, s40, s8
	s_addc_u32 s77, s41, s9
	global_store_dword v2, v2, s[76:77]
.LBB8_47:                               ;   in Loop: Header=BB8_40 Depth=3
	s_mov_b32 s76, 0
.LBB8_48:                               ;   in Loop: Header=BB8_40 Depth=3
	v_mov_b32_e32 v20, v14
	s_andn2_b32 vcc_lo, exec_lo, s76
	s_cbranch_vccnz .LBB8_52
; %bb.49:                               ;   in Loop: Header=BB8_40 Depth=3
	s_add_u32 s76, s36, s8
	s_addc_u32 s77, s37, s9
	global_store_dword v2, v17, s[72:73]
	global_load_dword v20, v2, s[76:77] offset:4
	v_div_scale_f32 v32, null, v17, v17, v19
	v_rcp_f32_e32 v33, v32
	v_fma_f32 v34, -v32, v33, 1.0
	v_fmac_f32_e32 v33, v34, v33
	v_div_scale_f32 v34, vcc_lo, v19, v17, v19
	v_mul_f32_e32 v35, v34, v33
	v_fma_f32 v36, -v32, v35, v34
	v_fmac_f32_e32 v35, v36, v33
	v_fma_f32 v32, -v32, v35, v34
	v_div_fmas_f32 v32, v32, v33, v35
	s_andn2_b32 vcc_lo, exec_lo, s104
	v_div_fixup_f32 v17, v32, v17, v19
	s_waitcnt vmcnt(0)
	v_fma_f32 v19, -v16, v17, v20
	global_store_dword v2, v25, s[74:75]
	global_store_dword v2, v19, s[72:73] offset:4
	s_cbranch_vccnz .LBB8_51
; %bb.50:                               ;   in Loop: Header=BB8_40 Depth=3
	global_load_dword v19, v2, s[76:77] offset:8
	s_add_u32 s72, s40, s8
	s_addc_u32 s73, s41, s9
	s_waitcnt vmcnt(0)
	v_mul_f32_e64 v20, v19, -v17
	global_store_dword v2, v19, s[72:73]
	global_store_dword v2, v20, s[76:77] offset:8
.LBB8_51:                               ;   in Loop: Header=BB8_40 Depth=3
	v_mov_b32_e32 v20, v13
	global_store_dword v2, v16, s[76:77] offset:4
	global_store_dword v2, v17, s[70:71]
.LBB8_52:                               ;   in Loop: Header=BB8_40 Depth=3
	v_mov_b32_e32 v13, v20
	s_cbranch_execz .LBB8_55
	s_branch .LBB8_58
.LBB8_53:                               ;   in Loop: Header=BB8_40 Depth=3
	v_mov_b32_e32 v15, 0
	v_cmp_neq_f32_e32 vcc_lo, 0, v17
	s_cbranch_vccnz .LBB8_44
.LBB8_54:                               ;   in Loop: Header=BB8_40 Depth=3
                                        ; implicit-def: $vgpr18
                                        ; implicit-def: $vgpr13
.LBB8_55:                               ;   in Loop: Header=BB8_40 Depth=3
	s_add_u32 s70, s18, s8
	s_addc_u32 s71, s19, s9
	s_andn2_b32 vcc_lo, exec_lo, s104
	global_store_dword v2, v2, s[70:71]
	s_cbranch_vccnz .LBB8_57
; %bb.56:                               ;   in Loop: Header=BB8_40 Depth=3
	s_add_u32 s70, s40, s8
	s_addc_u32 s71, s41, s9
	global_store_dword v2, v2, s[70:71]
.LBB8_57:                               ;   in Loop: Header=BB8_40 Depth=3
	v_mov_b32_e32 v18, 0
	v_mov_b32_e32 v13, v14
.LBB8_58:                               ;   in Loop: Header=BB8_40 Depth=3
	v_max_f32_e32 v14, v18, v18
	v_max_f32_e32 v15, v15, v15
	;; [unrolled: 1-line block ×3, first 2 shown]
	v_cmp_nle_f32_e32 vcc_lo, v14, v21
	s_cbranch_vccnz .LBB8_39
; %bb.59:                               ;   in Loop: Header=BB8_40 Depth=3
	global_load_dword v14, v2, s[64:65]
	s_waitcnt vmcnt(0)
	v_cmp_ne_u32_e32 vcc_lo, 0, v14
	s_cbranch_vccnz .LBB8_39
; %bb.60:                               ;   in Loop: Header=BB8_40 Depth=3
	v_mov_b32_e32 v14, s99
	global_store_dword v2, v14, s[64:65]
	s_branch .LBB8_39
.LBB8_61:                               ;   in Loop: Header=BB8_21 Depth=2
	global_load_dword v14, v2, s[66:67]
	v_mul_f32_e32 v13, v21, v13
	s_waitcnt vmcnt(0)
	v_cmp_le_f32_e64 s8, |v14|, v13
	s_and_b32 vcc_lo, exec_lo, s8
	s_cbranch_vccz .LBB8_64
; %bb.62:                               ;   in Loop: Header=BB8_21 Depth=2
	global_load_dword v13, v2, s[64:65]
	s_waitcnt vmcnt(0)
	v_cmp_ne_u32_e32 vcc_lo, 0, v13
	s_cbranch_vccnz .LBB8_64
; %bb.63:                               ;   in Loop: Header=BB8_21 Depth=2
	v_mov_b32_e32 v13, s53
	global_store_dword v2, v13, s[64:65]
.LBB8_64:                               ;   in Loop: Header=BB8_21 Depth=2
	s_or_b32 exec_lo, exec_lo, s26
	v_sub_f32_e32 v1, v28, v1
	s_mov_b32 s75, 0
	s_mov_b32 s76, 0
	v_cmp_gt_f32_e64 s74, |v1|, v30
	v_mov_b32_e32 v1, 0
	v_bfrev_b32_e32 v15, -2
	s_and_saveexec_b32 s9, s5
	s_cbranch_execz .LBB8_68
.LBB8_65:                               ;   in Loop: Header=BB8_21 Depth=2
	v_mov_b32_e32 v14, v4
	v_mov_b32_e32 v1, 0
	v_bfrev_b32_e32 v15, -2
	v_mov_b32_e32 v13, v3
	v_mov_b32_e32 v16, v0
	s_mov_b32 s26, 0
	.p2align	6
.LBB8_66:                               ;   Parent Loop BB8_12 Depth=1
                                        ;     Parent Loop BB8_21 Depth=2
                                        ; =>    This Inner Loop Header: Depth=3
	global_load_dword v17, v[13:14], off
	v_cmp_eq_u32_e32 vcc_lo, 0x7fffffff, v15
	v_add_nc_u32_e32 v18, 1, v16
	v_add_nc_u32_e32 v16, 0x100, v16
	v_add_co_u32 v13, s8, 0x400, v13
	v_add_co_ci_u32_e64 v14, null, 0, v14, s8
	v_cmp_lt_i32_e64 s8, s58, v16
	s_waitcnt vmcnt(0)
	v_cmp_lt_f32_e64 s70, v1, |v17|
	s_or_b32 vcc_lo, s70, vcc_lo
	s_or_b32 s26, s8, s26
	v_cndmask_b32_e64 v1, v1, |v17|, vcc_lo
	v_cndmask_b32_e32 v15, v15, v18, vcc_lo
	s_andn2_b32 exec_lo, exec_lo, s26
	s_cbranch_execnz .LBB8_66
; %bb.67:                               ;   in Loop: Header=BB8_21 Depth=2
	s_or_b32 exec_lo, exec_lo, s26
.LBB8_68:                               ;   Parent Loop BB8_12 Depth=1
                                        ;     Parent Loop BB8_21 Depth=2
                                        ; =>    This Loop Header: Depth=3
                                        ;         Child Loop BB8_105 Depth 4
                                        ;         Child Loop BB8_108 Depth 4
	;; [unrolled: 1-line block ×4, first 2 shown]
                                        ;           Child Loop BB8_124 Depth 5
                                        ;         Child Loop BB8_138 Depth 4
                                        ;           Child Loop BB8_139 Depth 5
                                        ;           Child Loop BB8_141 Depth 5
                                        ;         Child Loop BB8_146 Depth 4
	s_or_b32 exec_lo, exec_lo, s9
	ds_write2st64_b32 v22, v1, v15 offset1:8
	s_waitcnt lgkmcnt(0)
	s_waitcnt_vscnt null, 0x0
	s_barrier
	buffer_gl0_inv
	s_and_saveexec_b32 s9, s1
	s_cbranch_execz .LBB8_74
; %bb.69:                               ;   in Loop: Header=BB8_68 Depth=3
	ds_read2st64_b32 v[13:14], v22 offset0:2 offset1:10
	s_mov_b32 s70, exec_lo
	s_waitcnt lgkmcnt(0)
	v_cmp_lt_f32_e64 s26, v1, v13
	v_cmpx_nlt_f32_e32 v1, v13
; %bb.70:                               ;   in Loop: Header=BB8_68 Depth=3
	v_cmp_eq_f32_e32 vcc_lo, v1, v13
	v_cmp_gt_i32_e64 s8, v15, v14
	s_andn2_b32 s26, s26, exec_lo
	s_and_b32 s8, vcc_lo, s8
	s_and_b32 s8, s8, exec_lo
	s_or_b32 s26, s26, s8
; %bb.71:                               ;   in Loop: Header=BB8_68 Depth=3
	s_or_b32 exec_lo, exec_lo, s70
	s_and_saveexec_b32 s8, s26
; %bb.72:                               ;   in Loop: Header=BB8_68 Depth=3
	v_mov_b32_e32 v15, v14
	v_mov_b32_e32 v1, v13
	ds_write2st64_b32 v22, v13, v14 offset1:8
; %bb.73:                               ;   in Loop: Header=BB8_68 Depth=3
	s_or_b32 exec_lo, exec_lo, s8
.LBB8_74:                               ;   in Loop: Header=BB8_68 Depth=3
	s_or_b32 exec_lo, exec_lo, s9
	s_waitcnt lgkmcnt(0)
	s_barrier
	buffer_gl0_inv
	s_and_saveexec_b32 s9, s2
	s_cbranch_execz .LBB8_80
; %bb.75:                               ;   in Loop: Header=BB8_68 Depth=3
	ds_read2st64_b32 v[13:14], v22 offset0:1 offset1:9
	s_mov_b32 s70, exec_lo
	s_waitcnt lgkmcnt(0)
	v_cmp_lt_f32_e64 s26, v1, v13
	v_cmpx_nlt_f32_e32 v1, v13
; %bb.76:                               ;   in Loop: Header=BB8_68 Depth=3
	v_cmp_eq_f32_e32 vcc_lo, v1, v13
	v_cmp_gt_i32_e64 s8, v15, v14
	s_andn2_b32 s26, s26, exec_lo
	s_and_b32 s8, vcc_lo, s8
	s_and_b32 s8, s8, exec_lo
	s_or_b32 s26, s26, s8
; %bb.77:                               ;   in Loop: Header=BB8_68 Depth=3
	s_or_b32 exec_lo, exec_lo, s70
	s_and_saveexec_b32 s8, s26
; %bb.78:                               ;   in Loop: Header=BB8_68 Depth=3
	v_mov_b32_e32 v15, v14
	v_mov_b32_e32 v1, v13
	ds_write2st64_b32 v22, v13, v14 offset1:8
; %bb.79:                               ;   in Loop: Header=BB8_68 Depth=3
	s_or_b32 exec_lo, exec_lo, s8
.LBB8_80:                               ;   in Loop: Header=BB8_68 Depth=3
	s_or_b32 exec_lo, exec_lo, s9
	s_waitcnt lgkmcnt(0)
	s_barrier
	buffer_gl0_inv
	s_and_saveexec_b32 s26, s3
	s_cbranch_execz .LBB8_103
; %bb.81:                               ;   in Loop: Header=BB8_68 Depth=3
	v_add_nc_u32_e32 v13, 0x80, v22
	s_mov_b32 s70, exec_lo
	ds_read2st64_b32 v[13:14], v13 offset1:8
	s_waitcnt lgkmcnt(0)
	v_cmp_lt_f32_e64 s9, v1, v13
	v_cmpx_nlt_f32_e32 v1, v13
; %bb.82:                               ;   in Loop: Header=BB8_68 Depth=3
	v_cmp_eq_f32_e32 vcc_lo, v1, v13
	v_cmp_gt_i32_e64 s8, v15, v14
	s_andn2_b32 s9, s9, exec_lo
	s_and_b32 s8, vcc_lo, s8
	s_and_b32 s8, s8, exec_lo
	s_or_b32 s9, s9, s8
; %bb.83:                               ;   in Loop: Header=BB8_68 Depth=3
	s_or_b32 exec_lo, exec_lo, s70
	s_and_saveexec_b32 s8, s9
; %bb.84:                               ;   in Loop: Header=BB8_68 Depth=3
	v_mov_b32_e32 v1, v13
	v_mov_b32_e32 v15, v14
	ds_write2st64_b32 v22, v13, v14 offset1:8
; %bb.85:                               ;   in Loop: Header=BB8_68 Depth=3
	s_or_b32 exec_lo, exec_lo, s8
	v_add_nc_u32_e32 v13, 64, v22
	s_mov_b32 s70, exec_lo
	ds_read2st64_b32 v[13:14], v13 offset1:8
	s_waitcnt lgkmcnt(0)
	v_cmp_lt_f32_e64 s9, v1, v13
	v_cmpx_nlt_f32_e32 v1, v13
; %bb.86:                               ;   in Loop: Header=BB8_68 Depth=3
	v_cmp_eq_f32_e32 vcc_lo, v1, v13
	v_cmp_gt_i32_e64 s8, v15, v14
	s_andn2_b32 s9, s9, exec_lo
	s_and_b32 s8, vcc_lo, s8
	s_and_b32 s8, s8, exec_lo
	s_or_b32 s9, s9, s8
; %bb.87:                               ;   in Loop: Header=BB8_68 Depth=3
	s_or_b32 exec_lo, exec_lo, s70
	s_and_saveexec_b32 s8, s9
; %bb.88:                               ;   in Loop: Header=BB8_68 Depth=3
	v_mov_b32_e32 v1, v13
	v_mov_b32_e32 v15, v14
	ds_write2st64_b32 v22, v13, v14 offset1:8
; %bb.89:                               ;   in Loop: Header=BB8_68 Depth=3
	s_or_b32 exec_lo, exec_lo, s8
	;; [unrolled: 22-line block ×4, first 2 shown]
	v_add_nc_u32_e32 v13, 8, v22
	s_mov_b32 s70, exec_lo
	ds_read2st64_b32 v[13:14], v13 offset1:8
	s_waitcnt lgkmcnt(0)
	v_cmp_lt_f32_e64 s9, v1, v13
	v_cmpx_nlt_f32_e32 v1, v13
; %bb.98:                               ;   in Loop: Header=BB8_68 Depth=3
	v_cmp_eq_f32_e32 vcc_lo, v1, v13
	v_cmp_gt_i32_e64 s8, v15, v14
	s_andn2_b32 s9, s9, exec_lo
	s_and_b32 s8, vcc_lo, s8
	s_and_b32 s8, s8, exec_lo
	s_or_b32 s9, s9, s8
; %bb.99:                               ;   in Loop: Header=BB8_68 Depth=3
	s_or_b32 exec_lo, exec_lo, s70
	s_and_saveexec_b32 s8, s9
; %bb.100:                              ;   in Loop: Header=BB8_68 Depth=3
	v_mov_b32_e32 v1, v13
	v_mov_b32_e32 v15, v14
	ds_write2st64_b32 v22, v13, v14 offset1:8
; %bb.101:                              ;   in Loop: Header=BB8_68 Depth=3
	s_or_b32 exec_lo, exec_lo, s8
	v_add_nc_u32_e32 v13, 4, v22
	ds_read2st64_b32 v[13:14], v13 offset1:8
	s_waitcnt lgkmcnt(0)
	v_cmp_eq_f32_e32 vcc_lo, v1, v13
	v_cmp_gt_i32_e64 s8, v15, v14
	v_cmp_lt_f32_e64 s9, v1, v13
	s_and_b32 s8, vcc_lo, s8
	s_or_b32 s8, s9, s8
	s_and_b32 exec_lo, exec_lo, s8
; %bb.102:                              ;   in Loop: Header=BB8_68 Depth=3
	ds_write2st64_b32 v22, v13, v14 offset1:8
.LBB8_103:                              ;   in Loop: Header=BB8_68 Depth=3
	s_or_b32 exec_lo, exec_lo, s26
	s_waitcnt lgkmcnt(0)
	s_barrier
	buffer_gl0_inv
	s_and_saveexec_b32 s9, s5
	s_cbranch_execz .LBB8_106
; %bb.104:                              ;   in Loop: Header=BB8_68 Depth=3
	global_load_dword v1, v2, s[62:63]
	ds_read_b32 v15, v26
	s_mov_b32 s26, 0
	s_waitcnt vmcnt(0)
	v_cmp_lt_f32_e64 s8, s14, |v1|
	v_cndmask_b32_e64 v1, s14, |v1|, s8
	v_mul_f32_e32 v1, v31, v1
	s_waitcnt lgkmcnt(0)
	v_div_scale_f32 v13, null, v15, v15, v1
	v_div_scale_f32 v17, vcc_lo, v1, v15, v1
	v_rcp_f32_e32 v14, v13
	v_fma_f32 v16, -v13, v14, 1.0
	v_fmac_f32_e32 v14, v16, v14
	v_mul_f32_e32 v16, v17, v14
	v_fma_f32 v18, -v13, v16, v17
	v_fmac_f32_e32 v16, v18, v14
	v_fma_f32 v13, -v13, v16, v17
	v_div_fmas_f32 v16, v13, v14, v16
	v_mov_b32_e32 v14, v4
	v_mov_b32_e32 v13, v3
	v_div_fixup_f32 v1, v16, v15, v1
	v_mov_b32_e32 v15, v0
.LBB8_105:                              ;   Parent Loop BB8_12 Depth=1
                                        ;     Parent Loop BB8_21 Depth=2
                                        ;       Parent Loop BB8_68 Depth=3
                                        ; =>      This Inner Loop Header: Depth=4
	global_load_dword v16, v[13:14], off
	v_add_nc_u32_e32 v15, 0x100, v15
	v_cmp_lt_i32_e32 vcc_lo, s58, v15
	s_or_b32 s26, vcc_lo, s26
	s_waitcnt vmcnt(0)
	v_mul_f32_e32 v16, v1, v16
	global_store_dword v[13:14], v16, off
	v_add_co_u32 v13, s8, 0x400, v13
	v_add_co_ci_u32_e64 v14, null, 0, v14, s8
	s_andn2_b32 exec_lo, exec_lo, s26
	s_cbranch_execnz .LBB8_105
.LBB8_106:                              ;   in Loop: Header=BB8_68 Depth=3
	s_or_b32 exec_lo, exec_lo, s9
	s_waitcnt_vscnt null, 0x0
	s_barrier
	buffer_gl0_inv
	s_and_saveexec_b32 s77, s0
	s_cbranch_execz .LBB8_134
; %bb.107:                              ;   in Loop: Header=BB8_68 Depth=3
	s_clause 0x1
	global_load_dwordx2 v[13:14], v2, s[24:25]
	global_load_dword v1, v2, s[36:37] offset:4
	s_andn2_b32 vcc_lo, exec_lo, s95
	s_mov_b64 s[8:9], s[40:41]
	s_mov_b64 s[70:71], s[42:43]
	s_mov_b32 s26, s59
	s_waitcnt vmcnt(0)
	v_max3_f32 v1, |v13|, |v14|, |v1|
	s_cbranch_vccnz .LBB8_109
	.p2align	6
.LBB8_108:                              ;   Parent Loop BB8_12 Depth=1
                                        ;     Parent Loop BB8_21 Depth=2
                                        ;       Parent Loop BB8_68 Depth=3
                                        ; =>      This Inner Loop Header: Depth=4
	s_add_u32 s72, s70, s21
	s_addc_u32 s73, s71, s87
	s_clause 0x2
	global_load_dword v13, v2, s[70:71]
	global_load_dword v14, v2, s[8:9]
	global_load_dword v15, v2, s[72:73]
	s_add_i32 s26, s26, -1
	s_add_u32 s70, s70, 4
	s_addc_u32 s71, s71, 0
	s_add_u32 s8, s8, 4
	s_addc_u32 s9, s9, 0
	s_cmp_lg_u32 s26, 0
	s_waitcnt vmcnt(1)
	v_max_f32_e64 v14, |v14|, |v14|
	s_waitcnt vmcnt(0)
	v_max_f32_e64 v15, |v15|, |v15|
	v_max_f32_e32 v14, v15, v14
	v_max3_f32 v1, v1, |v13|, v14
	s_cbranch_scc1 .LBB8_108
.LBB8_109:                              ;   in Loop: Header=BB8_68 Depth=3
	s_mov_b32 s26, s58
	s_mov_b64 s[8:9], s[18:19]
	s_mov_b64 s[70:71], s[38:39]
	;; [unrolled: 1-line block ×3, first 2 shown]
	s_inst_prefetch 0x1
	s_branch .LBB8_111
	.p2align	6
.LBB8_110:                              ;   in Loop: Header=BB8_111 Depth=4
	s_add_u32 s72, s72, 4
	s_addc_u32 s73, s73, 0
	s_add_u32 s70, s70, 4
	s_addc_u32 s71, s71, 0
	;; [unrolled: 2-line block ×3, first 2 shown]
	s_add_i32 s26, s26, -1
	s_cmp_lg_u32 s26, 0
	s_cbranch_scc0 .LBB8_115
.LBB8_111:                              ;   Parent Loop BB8_12 Depth=1
                                        ;     Parent Loop BB8_21 Depth=2
                                        ;       Parent Loop BB8_68 Depth=3
                                        ; =>      This Inner Loop Header: Depth=4
	global_load_dword v13, v2, s[8:9]
	s_waitcnt vmcnt(0)
	v_cmp_ne_u32_e32 vcc_lo, 0, v13
	s_cbranch_vccz .LBB8_113
; %bb.112:                              ;   in Loop: Header=BB8_111 Depth=4
	global_load_dwordx2 v[13:14], v2, s[72:73] offset:-4
	s_waitcnt vmcnt(0)
	global_store_dword v2, v14, s[72:73] offset:-4
	global_load_dword v15, v2, s[70:71]
	s_waitcnt vmcnt(0)
	v_fma_f32 v13, -v14, v15, v13
	global_store_dword v2, v13, s[72:73]
	s_cbranch_execnz .LBB8_110
	s_branch .LBB8_114
	.p2align	6
.LBB8_113:                              ;   in Loop: Header=BB8_111 Depth=4
.LBB8_114:                              ;   in Loop: Header=BB8_111 Depth=4
	s_clause 0x1
	global_load_dwordx2 v[13:14], v2, s[72:73] offset:-4
	global_load_dword v15, v2, s[70:71]
	s_waitcnt vmcnt(0)
	v_fma_f32 v13, -v15, v13, v14
	global_store_dword v2, v13, s[72:73]
	s_branch .LBB8_110
.LBB8_115:                              ;   in Loop: Header=BB8_68 Depth=3
	s_inst_prefetch 0x2
	v_mul_f32_e32 v1, s14, v1
	s_mov_b32 s26, s58
	v_cmp_eq_f32_e32 vcc_lo, 0, v1
	v_cndmask_b32_e64 v1, v1, s14, vcc_lo
	v_and_b32_e32 v13, 0x7fffffff, v1
	s_branch .LBB8_118
.LBB8_116:                              ;   in Loop: Header=BB8_118 Depth=4
	v_mov_b32_e32 v15, v19
.LBB8_117:                              ;   in Loop: Header=BB8_118 Depth=4
	v_div_scale_f32 v16, null, v15, v15, v14
	s_add_i32 s8, s26, -1
	s_cmp_gt_i32 s26, 0
	s_mov_b32 s26, s8
	v_rcp_f32_e32 v17, v16
	v_fma_f32 v18, -v16, v17, 1.0
	v_fmac_f32_e32 v17, v18, v17
	v_div_scale_f32 v18, vcc_lo, v14, v15, v14
	v_mul_f32_e32 v19, v18, v17
	v_fma_f32 v20, -v16, v19, v18
	v_fmac_f32_e32 v19, v20, v17
	v_fma_f32 v16, -v16, v19, v18
	v_div_fmas_f32 v16, v16, v17, v19
	v_div_fixup_f32 v14, v16, v15, v14
	global_store_dword v2, v14, s[70:71]
	s_cbranch_scc0 .LBB8_134
.LBB8_118:                              ;   Parent Loop BB8_12 Depth=1
                                        ;     Parent Loop BB8_21 Depth=2
                                        ;       Parent Loop BB8_68 Depth=3
                                        ; =>      This Loop Header: Depth=4
                                        ;           Child Loop BB8_124 Depth 5
	s_lshl_b64 s[8:9], s[26:27], 2
	s_add_u32 s70, s12, s8
	s_addc_u32 s71, s13, s9
	s_cmp_ge_i32 s26, s58
	global_load_dword v14, v2, s[70:71]
	s_cbranch_scc1 .LBB8_120
; %bb.119:                              ;   in Loop: Header=BB8_118 Depth=4
	s_add_u32 s72, s36, s8
	s_addc_u32 s73, s37, s9
	s_clause 0x1
	global_load_dword v15, v2, s[72:73] offset:4
	global_load_dword v16, v2, s[70:71] offset:4
	s_waitcnt vmcnt(0)
	v_fma_f32 v14, -v15, v16, v14
.LBB8_120:                              ;   in Loop: Header=BB8_118 Depth=4
	s_cmp_ge_i32 s26, s59
	s_cbranch_scc1 .LBB8_122
; %bb.121:                              ;   in Loop: Header=BB8_118 Depth=4
	s_add_u32 s72, s40, s8
	s_addc_u32 s73, s41, s9
	s_clause 0x1
	global_load_dword v15, v2, s[72:73]
	global_load_dword v16, v2, s[70:71] offset:8
	s_waitcnt vmcnt(0)
	v_fma_f32 v14, -v15, v16, v14
.LBB8_122:                              ;   in Loop: Header=BB8_118 Depth=4
	s_add_u32 s8, s24, s8
	s_addc_u32 s9, s25, s9
	global_load_dword v15, v2, s[8:9]
	s_waitcnt vmcnt(0)
	v_cmp_nlt_f32_e64 s8, |v15|, 1.0
	s_and_b32 vcc_lo, exec_lo, s8
	s_cbranch_vccnz .LBB8_117
; %bb.123:                              ;   in Loop: Header=BB8_118 Depth=4
	v_cmp_nle_f32_e32 vcc_lo, 0, v15
	v_and_b32_e32 v18, 0x7fffffff, v15
	v_mul_f32_e64 v16, s15, |v14|
	v_cndmask_b32_e64 v17, |v1|, -v13, vcc_lo
	.p2align	6
.LBB8_124:                              ;   Parent Loop BB8_12 Depth=1
                                        ;     Parent Loop BB8_21 Depth=2
                                        ;       Parent Loop BB8_68 Depth=3
                                        ;         Parent Loop BB8_118 Depth=4
                                        ; =>        This Inner Loop Header: Depth=5
	v_cmp_ngt_f32_e32 vcc_lo, s15, v18
	s_mov_b32 s8, -1
	s_mov_b32 s9, 0
	s_mov_b32 s72, -1
	s_cbranch_vccnz .LBB8_128
; %bb.125:                              ;   in Loop: Header=BB8_124 Depth=5
	s_andn2_b32 vcc_lo, exec_lo, s72
	s_cbranch_vccz .LBB8_129
.LBB8_126:                              ;   in Loop: Header=BB8_124 Depth=5
	s_andn2_b32 vcc_lo, exec_lo, s9
	s_cbranch_vccnz .LBB8_130
.LBB8_127:                              ;   in Loop: Header=BB8_124 Depth=5
	v_add_f32_e32 v19, v15, v17
	v_add_f32_e32 v17, v17, v17
	s_mov_b32 s8, -1
	v_and_b32_e32 v18, 0x7fffffff, v19
	v_cmp_nlt_f32_e64 s9, |v19|, 1.0
	s_andn2_b32 vcc_lo, exec_lo, s9
	s_cbranch_vccnz .LBB8_131
	s_branch .LBB8_132
	.p2align	6
.LBB8_128:                              ;   in Loop: Header=BB8_124 Depth=5
	v_mul_f32_e32 v19, v23, v18
	v_cmp_gt_f32_e64 s9, |v14|, v19
	s_cbranch_execnz .LBB8_126
.LBB8_129:                              ;   in Loop: Header=BB8_124 Depth=5
	v_cmp_eq_f32_e32 vcc_lo, 0, v15
	v_cmp_gt_f32_e64 s8, v16, v18
	s_or_b32 s9, vcc_lo, s8
	s_mov_b32 s8, 0
	s_andn2_b32 vcc_lo, exec_lo, s9
	s_cbranch_vccz .LBB8_127
.LBB8_130:                              ;   in Loop: Header=BB8_118 Depth=4
	v_mov_b32_e32 v19, v15
                                        ; implicit-def: $vgpr17
                                        ; implicit-def: $vgpr18
	s_branch .LBB8_132
.LBB8_131:                              ;   in Loop: Header=BB8_124 Depth=5
	v_mov_b32_e32 v15, v19
	s_branch .LBB8_124
.LBB8_132:                              ;   in Loop: Header=BB8_118 Depth=4
	s_andn2_b32 vcc_lo, exec_lo, s8
	s_cbranch_vccz .LBB8_116
; %bb.133:                              ;   in Loop: Header=BB8_118 Depth=4
	v_mul_f32_e32 v14, v23, v14
	v_mul_f32_e32 v19, v23, v15
	s_branch .LBB8_116
.LBB8_134:                              ;   in Loop: Header=BB8_68 Depth=3
	s_or_b32 exec_lo, exec_lo, s77
	s_andn2_b32 vcc_lo, exec_lo, s69
	s_waitcnt_vscnt null, 0x0
	s_barrier
	buffer_gl0_inv
	s_cbranch_vccnz .LBB8_144
; %bb.135:                              ;   in Loop: Header=BB8_68 Depth=3
	s_and_b32 s8, s74, exec_lo
	s_cselect_b32 s26, s68, s55
	s_mov_b32 s55, s68
	s_cmp_eq_u32 s26, s68
	s_cbranch_scc1 .LBB8_144
; %bb.136:                              ;   in Loop: Header=BB8_68 Depth=3
	s_cmp_lt_i32 s26, s68
	s_cselect_b32 s8, -1, 0
	s_and_b32 s8, s0, s8
	s_and_saveexec_b32 s55, s8
	s_cbranch_execz .LBB8_143
; %bb.137:                              ;   in Loop: Header=BB8_68 Depth=3
	s_mul_i32 s8, s11, s26
	s_mov_b32 s73, s26
	s_add_i32 s72, s54, s8
	s_inst_prefetch 0x1
	.p2align	6
.LBB8_138:                              ;   Parent Loop BB8_12 Depth=1
                                        ;     Parent Loop BB8_21 Depth=2
                                        ;       Parent Loop BB8_68 Depth=3
                                        ; =>      This Loop Header: Depth=4
                                        ;           Child Loop BB8_139 Depth 5
                                        ;           Child Loop BB8_141 Depth 5
	v_mov_b32_e32 v1, 0
	s_mov_b64 s[8:9], s[12:13]
	s_mov_b32 s70, s72
	s_mov_b32 s77, s53
.LBB8_139:                              ;   Parent Loop BB8_12 Depth=1
                                        ;     Parent Loop BB8_21 Depth=2
                                        ;       Parent Loop BB8_68 Depth=3
                                        ;         Parent Loop BB8_138 Depth=4
                                        ; =>        This Inner Loop Header: Depth=5
	s_ashr_i32 s71, s70, 31
	s_lshl_b64 vcc, s[70:71], 2
	s_add_u32 vcc_lo, s10, vcc_lo
	s_addc_u32 vcc_hi, s86, vcc_hi
	s_clause 0x1
	global_load_dword v13, v2, s[8:9]
	global_load_dword v14, v2, vcc
	s_add_i32 s77, s77, -1
	s_add_i32 s70, s70, 1
	s_add_u32 s8, s8, 4
	s_addc_u32 s9, s9, 0
	s_cmp_lg_u32 s77, 0
	s_waitcnt vmcnt(0)
	v_fmac_f32_e32 v1, v13, v14
	s_cbranch_scc1 .LBB8_139
; %bb.140:                              ;   in Loop: Header=BB8_138 Depth=4
	s_mov_b32 s70, 0
	s_mov_b64 s[8:9], s[12:13]
	.p2align	6
.LBB8_141:                              ;   Parent Loop BB8_12 Depth=1
                                        ;     Parent Loop BB8_21 Depth=2
                                        ;       Parent Loop BB8_68 Depth=3
                                        ;         Parent Loop BB8_138 Depth=4
                                        ; =>        This Inner Loop Header: Depth=5
	s_add_i32 vcc_lo, s72, s70
	global_load_dword v13, v2, s[8:9]
	s_ashr_i32 vcc_hi, vcc_lo, 31
	s_lshl_b64 vcc, vcc, 2
	s_add_u32 vcc_lo, s10, vcc_lo
	s_addc_u32 vcc_hi, s86, vcc_hi
	s_add_i32 s70, s70, 1
	global_load_dword v14, v2, vcc
	s_waitcnt vmcnt(0)
	v_fma_f32 v13, -v1, v14, v13
	global_store_dword v2, v13, s[8:9]
	s_add_u32 s8, s8, 4
	s_addc_u32 s9, s9, 0
	s_cmp_lg_u32 s53, s70
	s_cbranch_scc1 .LBB8_141
; %bb.142:                              ;   in Loop: Header=BB8_138 Depth=4
	s_add_i32 s73, s73, 1
	s_add_i32 s72, s72, s11
	s_cmp_lt_i32 s73, s68
	s_cbranch_scc1 .LBB8_138
.LBB8_143:                              ;   in Loop: Header=BB8_68 Depth=3
	s_inst_prefetch 0x2
	s_or_b32 exec_lo, exec_lo, s55
	s_mov_b32 s55, s26
	s_waitcnt_vscnt null, 0x0
	s_barrier
	buffer_gl0_inv
.LBB8_144:                              ;   in Loop: Header=BB8_68 Depth=3
	v_mov_b32_e32 v1, 0
	v_bfrev_b32_e32 v15, -2
	s_and_saveexec_b32 s9, s5
	s_cbranch_execz .LBB8_148
; %bb.145:                              ;   in Loop: Header=BB8_68 Depth=3
	v_mov_b32_e32 v14, v4
	v_mov_b32_e32 v1, 0
	v_bfrev_b32_e32 v15, -2
	v_mov_b32_e32 v13, v3
	v_mov_b32_e32 v16, v0
	s_mov_b32 s26, 0
	.p2align	6
.LBB8_146:                              ;   Parent Loop BB8_12 Depth=1
                                        ;     Parent Loop BB8_21 Depth=2
                                        ;       Parent Loop BB8_68 Depth=3
                                        ; =>      This Inner Loop Header: Depth=4
	global_load_dword v17, v[13:14], off
	v_cmp_eq_u32_e32 vcc_lo, 0x7fffffff, v15
	v_add_nc_u32_e32 v18, 1, v16
	v_add_nc_u32_e32 v16, 0x100, v16
	v_add_co_u32 v13, s8, 0x400, v13
	v_add_co_ci_u32_e64 v14, null, 0, v14, s8
	v_cmp_lt_i32_e64 s8, s58, v16
	s_waitcnt vmcnt(0)
	v_cmp_lt_f32_e64 s70, v1, |v17|
	s_or_b32 vcc_lo, s70, vcc_lo
	s_or_b32 s26, s8, s26
	v_cndmask_b32_e64 v1, v1, |v17|, vcc_lo
	v_cndmask_b32_e32 v15, v15, v18, vcc_lo
	s_andn2_b32 exec_lo, exec_lo, s26
	s_cbranch_execnz .LBB8_146
; %bb.147:                              ;   in Loop: Header=BB8_68 Depth=3
	s_or_b32 exec_lo, exec_lo, s26
.LBB8_148:                              ;   in Loop: Header=BB8_68 Depth=3
	s_or_b32 exec_lo, exec_lo, s9
	ds_write2st64_b32 v22, v1, v15 offset1:8
	s_waitcnt lgkmcnt(0)
	s_barrier
	buffer_gl0_inv
	s_and_saveexec_b32 s9, s1
	s_cbranch_execz .LBB8_154
; %bb.149:                              ;   in Loop: Header=BB8_68 Depth=3
	ds_read2st64_b32 v[13:14], v22 offset0:2 offset1:10
	s_mov_b32 s70, exec_lo
	s_waitcnt lgkmcnt(0)
	v_cmp_lt_f32_e64 s26, v1, v13
	v_cmpx_nlt_f32_e32 v1, v13
; %bb.150:                              ;   in Loop: Header=BB8_68 Depth=3
	v_cmp_eq_f32_e32 vcc_lo, v1, v13
	v_cmp_gt_i32_e64 s8, v15, v14
	s_andn2_b32 s26, s26, exec_lo
	s_and_b32 s8, vcc_lo, s8
	s_and_b32 s8, s8, exec_lo
	s_or_b32 s26, s26, s8
; %bb.151:                              ;   in Loop: Header=BB8_68 Depth=3
	s_or_b32 exec_lo, exec_lo, s70
	s_and_saveexec_b32 s8, s26
; %bb.152:                              ;   in Loop: Header=BB8_68 Depth=3
	v_mov_b32_e32 v15, v14
	v_mov_b32_e32 v1, v13
	ds_write2st64_b32 v22, v13, v14 offset1:8
; %bb.153:                              ;   in Loop: Header=BB8_68 Depth=3
	s_or_b32 exec_lo, exec_lo, s8
.LBB8_154:                              ;   in Loop: Header=BB8_68 Depth=3
	s_or_b32 exec_lo, exec_lo, s9
	s_waitcnt lgkmcnt(0)
	s_barrier
	buffer_gl0_inv
	s_and_saveexec_b32 s9, s2
	s_cbranch_execz .LBB8_160
; %bb.155:                              ;   in Loop: Header=BB8_68 Depth=3
	ds_read2st64_b32 v[13:14], v22 offset0:1 offset1:9
	s_mov_b32 s70, exec_lo
	s_waitcnt lgkmcnt(0)
	v_cmp_lt_f32_e64 s26, v1, v13
	v_cmpx_nlt_f32_e32 v1, v13
; %bb.156:                              ;   in Loop: Header=BB8_68 Depth=3
	v_cmp_eq_f32_e32 vcc_lo, v1, v13
	v_cmp_gt_i32_e64 s8, v15, v14
	s_andn2_b32 s26, s26, exec_lo
	s_and_b32 s8, vcc_lo, s8
	s_and_b32 s8, s8, exec_lo
	s_or_b32 s26, s26, s8
; %bb.157:                              ;   in Loop: Header=BB8_68 Depth=3
	s_or_b32 exec_lo, exec_lo, s70
	s_and_saveexec_b32 s8, s26
; %bb.158:                              ;   in Loop: Header=BB8_68 Depth=3
	v_mov_b32_e32 v15, v14
	v_mov_b32_e32 v1, v13
	ds_write2st64_b32 v22, v13, v14 offset1:8
; %bb.159:                              ;   in Loop: Header=BB8_68 Depth=3
	s_or_b32 exec_lo, exec_lo, s8
.LBB8_160:                              ;   in Loop: Header=BB8_68 Depth=3
	s_or_b32 exec_lo, exec_lo, s9
	s_waitcnt lgkmcnt(0)
	s_barrier
	buffer_gl0_inv
	s_and_saveexec_b32 s26, s3
	s_cbranch_execz .LBB8_183
; %bb.161:                              ;   in Loop: Header=BB8_68 Depth=3
	v_add_nc_u32_e32 v13, 0x80, v22
	s_mov_b32 s70, exec_lo
	ds_read2st64_b32 v[13:14], v13 offset1:8
	s_waitcnt lgkmcnt(0)
	v_cmp_lt_f32_e64 s9, v1, v13
	v_cmpx_nlt_f32_e32 v1, v13
; %bb.162:                              ;   in Loop: Header=BB8_68 Depth=3
	v_cmp_eq_f32_e32 vcc_lo, v1, v13
	v_cmp_gt_i32_e64 s8, v15, v14
	s_andn2_b32 s9, s9, exec_lo
	s_and_b32 s8, vcc_lo, s8
	s_and_b32 s8, s8, exec_lo
	s_or_b32 s9, s9, s8
; %bb.163:                              ;   in Loop: Header=BB8_68 Depth=3
	s_or_b32 exec_lo, exec_lo, s70
	s_and_saveexec_b32 s8, s9
; %bb.164:                              ;   in Loop: Header=BB8_68 Depth=3
	v_mov_b32_e32 v1, v13
	v_mov_b32_e32 v15, v14
	ds_write2st64_b32 v22, v13, v14 offset1:8
; %bb.165:                              ;   in Loop: Header=BB8_68 Depth=3
	s_or_b32 exec_lo, exec_lo, s8
	v_add_nc_u32_e32 v13, 64, v22
	s_mov_b32 s70, exec_lo
	ds_read2st64_b32 v[13:14], v13 offset1:8
	s_waitcnt lgkmcnt(0)
	v_cmp_lt_f32_e64 s9, v1, v13
	v_cmpx_nlt_f32_e32 v1, v13
; %bb.166:                              ;   in Loop: Header=BB8_68 Depth=3
	v_cmp_eq_f32_e32 vcc_lo, v1, v13
	v_cmp_gt_i32_e64 s8, v15, v14
	s_andn2_b32 s9, s9, exec_lo
	s_and_b32 s8, vcc_lo, s8
	s_and_b32 s8, s8, exec_lo
	s_or_b32 s9, s9, s8
; %bb.167:                              ;   in Loop: Header=BB8_68 Depth=3
	s_or_b32 exec_lo, exec_lo, s70
	s_and_saveexec_b32 s8, s9
; %bb.168:                              ;   in Loop: Header=BB8_68 Depth=3
	v_mov_b32_e32 v1, v13
	v_mov_b32_e32 v15, v14
	ds_write2st64_b32 v22, v13, v14 offset1:8
; %bb.169:                              ;   in Loop: Header=BB8_68 Depth=3
	s_or_b32 exec_lo, exec_lo, s8
	;; [unrolled: 22-line block ×5, first 2 shown]
	v_add_nc_u32_e32 v13, 4, v22
	ds_read2st64_b32 v[13:14], v13 offset1:8
	s_waitcnt lgkmcnt(0)
	v_cmp_eq_f32_e32 vcc_lo, v1, v13
	v_cmp_gt_i32_e64 s8, v15, v14
	v_cmp_lt_f32_e64 s9, v1, v13
	s_and_b32 s8, vcc_lo, s8
	s_or_b32 s8, s9, s8
	s_and_b32 exec_lo, exec_lo, s8
; %bb.182:                              ;   in Loop: Header=BB8_68 Depth=3
	ds_write2st64_b32 v22, v13, v14 offset1:8
.LBB8_183:                              ;   in Loop: Header=BB8_68 Depth=3
	s_or_b32 exec_lo, exec_lo, s26
	s_waitcnt lgkmcnt(0)
	s_barrier
	buffer_gl0_inv
	ds_read_b32 v1, v26
	s_add_i32 s8, s76, 1
	s_waitcnt lgkmcnt(0)
	v_cmp_ge_f32_e32 vcc_lo, v1, v29
	v_cndmask_b32_e64 v1, 0, 1, vcc_lo
	v_readfirstlane_b32 s9, v1
	s_add_i32 s75, s75, s9
	s_cmp_lt_u32 s76, 4
	s_cselect_b32 s26, -1, 0
	s_cmp_lt_u32 s75, 2
	s_cselect_b32 s9, -1, 0
	s_and_b32 s26, s26, s9
	s_and_b32 vcc_lo, exec_lo, s26
	s_cbranch_vccz .LBB8_185
; %bb.184:                              ;   in Loop: Header=BB8_68 Depth=3
	s_mov_b32 s76, s8
	v_mov_b32_e32 v1, 0
	v_bfrev_b32_e32 v15, -2
	s_and_saveexec_b32 s9, s5
	s_cbranch_execnz .LBB8_65
	s_branch .LBB8_68
.LBB8_185:                              ;   in Loop: Header=BB8_21 Depth=2
	s_and_b32 s9, s29, s9
	s_and_saveexec_b32 s8, s9
	s_cbranch_execz .LBB8_187
; %bb.186:                              ;   in Loop: Header=BB8_21 Depth=2
	ds_read_b32 v13, v2
	s_add_i32 s9, s68, 1
	v_mov_b32_e32 v1, s9
	s_waitcnt lgkmcnt(0)
	v_ashrrev_i32_e32 v14, 31, v13
	v_lshlrev_b64 v[14:15], 2, v[13:14]
	v_add_nc_u32_e32 v13, 1, v13
	ds_write_b32 v2, v13
	v_add_co_u32 v14, vcc_lo, s48, v14
	v_add_co_ci_u32_e64 v15, null, s49, v15, vcc_lo
	global_store_dword v[14:15], v1, off
.LBB8_187:                              ;   in Loop: Header=BB8_21 Depth=2
	s_or_b32 exec_lo, exec_lo, s8
	v_mov_b32_e32 v1, 0
	v_bfrev_b32_e32 v15, -2
	s_and_saveexec_b32 s9, s5
	s_cbranch_execz .LBB8_191
; %bb.188:                              ;   in Loop: Header=BB8_21 Depth=2
	v_mov_b32_e32 v14, v4
	v_mov_b32_e32 v1, 0
	v_bfrev_b32_e32 v15, -2
	v_mov_b32_e32 v13, v3
	v_mov_b32_e32 v16, v0
	s_mov_b32 s26, 0
	.p2align	6
.LBB8_189:                              ;   Parent Loop BB8_12 Depth=1
                                        ;     Parent Loop BB8_21 Depth=2
                                        ; =>    This Inner Loop Header: Depth=3
	global_load_dword v17, v[13:14], off
	v_cmp_eq_u32_e32 vcc_lo, 0x7fffffff, v15
	v_add_nc_u32_e32 v18, 1, v16
	v_add_nc_u32_e32 v16, 0x100, v16
	v_add_co_u32 v13, s8, 0x400, v13
	v_add_co_ci_u32_e64 v14, null, 0, v14, s8
	v_cmp_lt_i32_e64 s8, s58, v16
	s_waitcnt vmcnt(0)
	v_cmp_lt_f32_e64 s69, v1, |v17|
	s_or_b32 vcc_lo, s69, vcc_lo
	s_or_b32 s26, s8, s26
	v_cndmask_b32_e64 v1, v1, |v17|, vcc_lo
	v_cndmask_b32_e32 v15, v15, v18, vcc_lo
	s_andn2_b32 exec_lo, exec_lo, s26
	s_cbranch_execnz .LBB8_189
; %bb.190:                              ;   in Loop: Header=BB8_21 Depth=2
	s_or_b32 exec_lo, exec_lo, s26
.LBB8_191:                              ;   in Loop: Header=BB8_21 Depth=2
	s_or_b32 exec_lo, exec_lo, s9
	ds_write2st64_b32 v22, v1, v15 offset1:8
	s_waitcnt lgkmcnt(0)
	s_waitcnt_vscnt null, 0x0
	s_barrier
	buffer_gl0_inv
	s_and_saveexec_b32 s9, s1
	s_cbranch_execz .LBB8_197
; %bb.192:                              ;   in Loop: Header=BB8_21 Depth=2
	ds_read2st64_b32 v[13:14], v22 offset0:2 offset1:10
	s_mov_b32 s69, exec_lo
	s_waitcnt lgkmcnt(0)
	v_cmp_lt_f32_e64 s26, v1, v13
	v_cmpx_nlt_f32_e32 v1, v13
; %bb.193:                              ;   in Loop: Header=BB8_21 Depth=2
	v_cmp_eq_f32_e32 vcc_lo, v1, v13
	v_cmp_gt_i32_e64 s8, v15, v14
	s_andn2_b32 s26, s26, exec_lo
	s_and_b32 s8, vcc_lo, s8
	s_and_b32 s8, s8, exec_lo
	s_or_b32 s26, s26, s8
; %bb.194:                              ;   in Loop: Header=BB8_21 Depth=2
	s_or_b32 exec_lo, exec_lo, s69
	s_and_saveexec_b32 s8, s26
; %bb.195:                              ;   in Loop: Header=BB8_21 Depth=2
	v_mov_b32_e32 v15, v14
	v_mov_b32_e32 v1, v13
	ds_write2st64_b32 v22, v13, v14 offset1:8
; %bb.196:                              ;   in Loop: Header=BB8_21 Depth=2
	s_or_b32 exec_lo, exec_lo, s8
.LBB8_197:                              ;   in Loop: Header=BB8_21 Depth=2
	s_or_b32 exec_lo, exec_lo, s9
	s_waitcnt lgkmcnt(0)
	s_barrier
	buffer_gl0_inv
	s_and_saveexec_b32 s9, s2
	s_cbranch_execz .LBB8_203
; %bb.198:                              ;   in Loop: Header=BB8_21 Depth=2
	ds_read2st64_b32 v[13:14], v22 offset0:1 offset1:9
	s_mov_b32 s69, exec_lo
	s_waitcnt lgkmcnt(0)
	v_cmp_lt_f32_e64 s26, v1, v13
	v_cmpx_nlt_f32_e32 v1, v13
; %bb.199:                              ;   in Loop: Header=BB8_21 Depth=2
	v_cmp_eq_f32_e32 vcc_lo, v1, v13
	v_cmp_gt_i32_e64 s8, v15, v14
	s_andn2_b32 s26, s26, exec_lo
	s_and_b32 s8, vcc_lo, s8
	s_and_b32 s8, s8, exec_lo
	s_or_b32 s26, s26, s8
; %bb.200:                              ;   in Loop: Header=BB8_21 Depth=2
	s_or_b32 exec_lo, exec_lo, s69
	s_and_saveexec_b32 s8, s26
; %bb.201:                              ;   in Loop: Header=BB8_21 Depth=2
	v_mov_b32_e32 v15, v14
	v_mov_b32_e32 v1, v13
	ds_write2st64_b32 v22, v13, v14 offset1:8
; %bb.202:                              ;   in Loop: Header=BB8_21 Depth=2
	s_or_b32 exec_lo, exec_lo, s8
.LBB8_203:                              ;   in Loop: Header=BB8_21 Depth=2
	s_or_b32 exec_lo, exec_lo, s9
	s_waitcnt lgkmcnt(0)
	s_barrier
	buffer_gl0_inv
	s_and_saveexec_b32 s26, s3
	s_cbranch_execz .LBB8_226
; %bb.204:                              ;   in Loop: Header=BB8_21 Depth=2
	v_add_nc_u32_e32 v13, 0x80, v22
	s_mov_b32 s69, exec_lo
	ds_read2st64_b32 v[13:14], v13 offset1:8
	s_waitcnt lgkmcnt(0)
	v_cmp_lt_f32_e64 s9, v1, v13
	v_cmpx_nlt_f32_e32 v1, v13
; %bb.205:                              ;   in Loop: Header=BB8_21 Depth=2
	v_cmp_eq_f32_e32 vcc_lo, v1, v13
	v_cmp_gt_i32_e64 s8, v15, v14
	s_andn2_b32 s9, s9, exec_lo
	s_and_b32 s8, vcc_lo, s8
	s_and_b32 s8, s8, exec_lo
	s_or_b32 s9, s9, s8
; %bb.206:                              ;   in Loop: Header=BB8_21 Depth=2
	s_or_b32 exec_lo, exec_lo, s69
	s_and_saveexec_b32 s8, s9
; %bb.207:                              ;   in Loop: Header=BB8_21 Depth=2
	v_mov_b32_e32 v1, v13
	v_mov_b32_e32 v15, v14
	ds_write2st64_b32 v22, v13, v14 offset1:8
; %bb.208:                              ;   in Loop: Header=BB8_21 Depth=2
	s_or_b32 exec_lo, exec_lo, s8
	v_add_nc_u32_e32 v13, 64, v22
	s_mov_b32 s69, exec_lo
	ds_read2st64_b32 v[13:14], v13 offset1:8
	s_waitcnt lgkmcnt(0)
	v_cmp_lt_f32_e64 s9, v1, v13
	v_cmpx_nlt_f32_e32 v1, v13
; %bb.209:                              ;   in Loop: Header=BB8_21 Depth=2
	v_cmp_eq_f32_e32 vcc_lo, v1, v13
	v_cmp_gt_i32_e64 s8, v15, v14
	s_andn2_b32 s9, s9, exec_lo
	s_and_b32 s8, vcc_lo, s8
	s_and_b32 s8, s8, exec_lo
	s_or_b32 s9, s9, s8
; %bb.210:                              ;   in Loop: Header=BB8_21 Depth=2
	s_or_b32 exec_lo, exec_lo, s69
	s_and_saveexec_b32 s8, s9
; %bb.211:                              ;   in Loop: Header=BB8_21 Depth=2
	v_mov_b32_e32 v1, v13
	v_mov_b32_e32 v15, v14
	ds_write2st64_b32 v22, v13, v14 offset1:8
; %bb.212:                              ;   in Loop: Header=BB8_21 Depth=2
	s_or_b32 exec_lo, exec_lo, s8
	;; [unrolled: 22-line block ×5, first 2 shown]
	v_add_nc_u32_e32 v13, 4, v22
	ds_read2st64_b32 v[13:14], v13 offset1:8
	s_waitcnt lgkmcnt(0)
	v_cmp_eq_f32_e32 vcc_lo, v1, v13
	v_cmp_gt_i32_e64 s8, v15, v14
	v_cmp_lt_f32_e64 s9, v1, v13
	s_and_b32 s8, vcc_lo, s8
	s_or_b32 s8, s9, s8
	s_and_b32 exec_lo, exec_lo, s8
; %bb.225:                              ;   in Loop: Header=BB8_21 Depth=2
	ds_write2st64_b32 v22, v13, v14 offset1:8
.LBB8_226:                              ;   in Loop: Header=BB8_21 Depth=2
	s_or_b32 exec_lo, exec_lo, s26
	v_mov_b32_e32 v1, 0
	s_and_saveexec_b32 s9, s7
	s_cbranch_execz .LBB8_230
; %bb.227:                              ;   in Loop: Header=BB8_21 Depth=2
	v_mov_b32_e32 v14, v4
	v_mov_b32_e32 v1, 0
	;; [unrolled: 1-line block ×4, first 2 shown]
	s_mov_b32 s26, 0
.LBB8_228:                              ;   Parent Loop BB8_12 Depth=1
                                        ;     Parent Loop BB8_21 Depth=2
                                        ; =>    This Inner Loop Header: Depth=3
	global_load_dword v16, v[13:14], off
	v_add_nc_u32_e32 v15, 0x100, v15
	v_add_co_u32 v13, vcc_lo, 0x400, v13
	v_add_co_ci_u32_e64 v14, null, 0, v14, vcc_lo
	v_cmp_le_u32_e64 s8, s53, v15
	s_or_b32 s26, s8, s26
	s_waitcnt vmcnt(0)
	v_fmac_f32_e32 v1, v16, v16
	s_andn2_b32 exec_lo, exec_lo, s26
	s_cbranch_execnz .LBB8_228
; %bb.229:                              ;   in Loop: Header=BB8_21 Depth=2
	s_or_b32 exec_lo, exec_lo, s26
.LBB8_230:                              ;   in Loop: Header=BB8_21 Depth=2
	s_or_b32 exec_lo, exec_lo, s9
	ds_write_b32 v22, v1 offset:1024
	s_waitcnt lgkmcnt(0)
	s_barrier
	buffer_gl0_inv
	s_and_saveexec_b32 s8, s1
	s_cbranch_execz .LBB8_232
; %bb.231:                              ;   in Loop: Header=BB8_21 Depth=2
	ds_read_b32 v13, v22 offset:1536
	s_waitcnt lgkmcnt(0)
	v_add_f32_e32 v1, v1, v13
.LBB8_232:                              ;   in Loop: Header=BB8_21 Depth=2
	s_or_b32 exec_lo, exec_lo, s8
	s_barrier
	buffer_gl0_inv
	s_and_saveexec_b32 s8, s1
; %bb.233:                              ;   in Loop: Header=BB8_21 Depth=2
	ds_write_b32 v22, v1 offset:1024
; %bb.234:                              ;   in Loop: Header=BB8_21 Depth=2
	s_or_b32 exec_lo, exec_lo, s8
	s_waitcnt lgkmcnt(0)
	s_barrier
	buffer_gl0_inv
	s_and_saveexec_b32 s8, s2
	s_cbranch_execz .LBB8_236
; %bb.235:                              ;   in Loop: Header=BB8_21 Depth=2
	ds_read_b32 v13, v22 offset:1280
	s_waitcnt lgkmcnt(0)
	v_add_f32_e32 v1, v1, v13
.LBB8_236:                              ;   in Loop: Header=BB8_21 Depth=2
	s_or_b32 exec_lo, exec_lo, s8
	s_barrier
	buffer_gl0_inv
	s_and_saveexec_b32 s8, s2
; %bb.237:                              ;   in Loop: Header=BB8_21 Depth=2
	ds_write_b32 v22, v1 offset:1024
; %bb.238:                              ;   in Loop: Header=BB8_21 Depth=2
	s_or_b32 exec_lo, exec_lo, s8
	s_waitcnt lgkmcnt(0)
	s_barrier
	buffer_gl0_inv
	s_and_saveexec_b32 s8, s3
	s_cbranch_execz .LBB8_240
; %bb.239:                              ;   in Loop: Header=BB8_21 Depth=2
	v_add_nc_u32_e32 v1, 0x400, v22
	ds_read2_b32 v[13:14], v1 offset1:32
	s_waitcnt lgkmcnt(0)
	v_add_f32_e32 v13, v13, v14
	ds_write_b32 v22, v13 offset:1024
	s_waitcnt lgkmcnt(0)
	buffer_gl1_inv
	buffer_gl0_inv
	ds_read2_b32 v[13:14], v1 offset1:16
	s_waitcnt lgkmcnt(0)
	v_add_f32_e32 v13, v13, v14
	ds_write_b32 v22, v13 offset:1024
	s_waitcnt lgkmcnt(0)
	buffer_gl1_inv
	buffer_gl0_inv
	;; [unrolled: 7-line block ×4, first 2 shown]
	ds_read2_b32 v[13:14], v1 offset1:2
	s_waitcnt lgkmcnt(0)
	v_add_f32_e32 v1, v13, v14
	v_add_nc_u32_e32 v13, 0x400, v22
	ds_write_b32 v22, v1 offset:1024
	s_waitcnt lgkmcnt(0)
	buffer_gl1_inv
	buffer_gl0_inv
	ds_read2_b32 v[13:14], v13 offset1:1
	s_waitcnt lgkmcnt(0)
	v_add_f32_e32 v1, v13, v14
	ds_write_b32 v22, v1 offset:1024
	s_waitcnt lgkmcnt(0)
	buffer_gl1_inv
	buffer_gl0_inv
.LBB8_240:                              ;   in Loop: Header=BB8_21 Depth=2
	s_or_b32 exec_lo, exec_lo, s8
	s_and_saveexec_b32 s9, s0
	s_cbranch_execz .LBB8_242
; %bb.241:                              ;   in Loop: Header=BB8_21 Depth=2
	ds_read_b32 v1, v26 offset:1024
	s_waitcnt lgkmcnt(0)
	v_mul_f32_e32 v13, 0x4f800000, v1
	v_cmp_gt_f32_e32 vcc_lo, 0xf800000, v1
	v_cndmask_b32_e32 v1, v1, v13, vcc_lo
	v_sqrt_f32_e32 v13, v1
	v_add_nc_u32_e32 v14, -1, v13
	v_add_nc_u32_e32 v15, 1, v13
	v_fma_f32 v16, -v14, v13, v1
	v_fma_f32 v17, -v15, v13, v1
	v_cmp_ge_f32_e64 s8, 0, v16
	v_cndmask_b32_e64 v13, v13, v14, s8
	v_cmp_lt_f32_e64 s8, 0, v17
	v_cndmask_b32_e64 v13, v13, v15, s8
	v_mul_f32_e32 v14, 0x37800000, v13
	v_cndmask_b32_e32 v13, v13, v14, vcc_lo
	v_cmp_class_f32_e64 vcc_lo, v1, 0x260
	v_cndmask_b32_e32 v1, v13, v1, vcc_lo
	ds_write_b32 v26, v1 offset:1024
.LBB8_242:                              ;   in Loop: Header=BB8_21 Depth=2
	s_or_b32 exec_lo, exec_lo, s9
	s_waitcnt lgkmcnt(0)
	s_barrier
	buffer_gl0_inv
	ds_read2st64_b32 v[13:14], v26 offset0:4 offset1:8
	s_waitcnt lgkmcnt(0)
	v_ashrrev_i32_e32 v15, 31, v14
	v_lshlrev_b64 v[14:15], 2, v[14:15]
	v_add_co_u32 v14, vcc_lo, s12, v14
	v_add_co_ci_u32_e64 v15, null, s13, v15, vcc_lo
	global_load_dword v1, v[14:15], off offset:-4
	s_waitcnt vmcnt(0)
	s_barrier
	buffer_gl0_inv
	s_and_saveexec_b32 s9, s5
	s_cbranch_execz .LBB8_245
; %bb.243:                              ;   in Loop: Header=BB8_21 Depth=2
	v_cmp_nle_f32_e32 vcc_lo, 0, v1
	s_mov_b32 s26, 0
	v_cndmask_b32_e64 v1, 1.0, -1.0, vcc_lo
	v_div_scale_f32 v14, null, v13, v13, v1
	v_div_scale_f32 v17, vcc_lo, v1, v13, v1
	v_rcp_f32_e32 v15, v14
	v_fma_f32 v16, -v14, v15, 1.0
	v_fmac_f32_e32 v15, v16, v15
	v_mul_f32_e32 v16, v17, v15
	v_fma_f32 v18, -v14, v16, v17
	v_fmac_f32_e32 v16, v18, v15
	v_fma_f32 v14, -v14, v16, v17
	v_div_fmas_f32 v16, v14, v15, v16
	v_mov_b32_e32 v15, v4
	v_mov_b32_e32 v14, v3
	v_div_fixup_f32 v1, v16, v13, v1
	v_mov_b32_e32 v13, v0
.LBB8_244:                              ;   Parent Loop BB8_12 Depth=1
                                        ;     Parent Loop BB8_21 Depth=2
                                        ; =>    This Inner Loop Header: Depth=3
	global_load_dword v16, v[14:15], off
	v_add_nc_u32_e32 v13, 0x100, v13
	v_cmp_lt_i32_e32 vcc_lo, s58, v13
	s_or_b32 s26, vcc_lo, s26
	s_waitcnt vmcnt(0)
	v_mul_f32_e32 v16, v1, v16
	global_store_dword v[14:15], v16, off
	v_add_co_u32 v14, s8, 0x400, v14
	v_add_co_ci_u32_e64 v15, null, 0, v15, s8
	s_andn2_b32 exec_lo, exec_lo, s26
	s_cbranch_execnz .LBB8_244
.LBB8_245:                              ;   in Loop: Header=BB8_21 Depth=2
	s_or_b32 exec_lo, exec_lo, s9
	s_waitcnt_vscnt null, 0x0
	s_barrier
	buffer_gl0_inv
	s_and_saveexec_b32 s9, s4
	s_cbranch_execz .LBB8_250
.LBB8_246:                              ;   in Loop: Header=BB8_21 Depth=2
	v_mov_b32_e32 v13, v0
	s_mov_b32 s26, 0
	s_inst_prefetch 0x1
	s_branch .LBB8_248
	.p2align	6
.LBB8_247:                              ;   in Loop: Header=BB8_248 Depth=3
	s_or_b32 exec_lo, exec_lo, s8
	v_add_nc_u32_e32 v14, s98, v13
	v_add_nc_u32_e32 v13, 0x100, v13
	v_ashrrev_i32_e32 v15, 31, v14
	v_cmp_le_i32_e32 vcc_lo, s28, v13
	v_lshlrev_b64 v[14:15], 2, v[14:15]
	s_or_b32 s26, vcc_lo, s26
	v_add_co_u32 v14, s8, s10, v14
	v_add_co_ci_u32_e64 v15, null, s86, v15, s8
	s_waitcnt vmcnt(0)
	global_store_dword v[14:15], v1, off
	s_andn2_b32 exec_lo, exec_lo, s26
	s_cbranch_execz .LBB8_250
.LBB8_248:                              ;   Parent Loop BB8_12 Depth=1
                                        ;     Parent Loop BB8_21 Depth=2
                                        ; =>    This Inner Loop Header: Depth=3
	v_cmp_le_i32_e32 vcc_lo, s54, v13
	v_cmp_gt_i32_e64 s8, s56, v13
	v_mov_b32_e32 v1, 0
	s_and_b32 s69, vcc_lo, s8
	s_and_saveexec_b32 s8, s69
	s_cbranch_execz .LBB8_247
; %bb.249:                              ;   in Loop: Header=BB8_248 Depth=3
	v_add_nc_u32_e32 v1, s96, v13
	v_lshlrev_b64 v[14:15], 2, v[1:2]
	v_add_co_u32 v14, vcc_lo, s12, v14
	v_add_co_ci_u32_e64 v15, null, s13, v15, vcc_lo
	global_load_dword v1, v[14:15], off
	s_branch .LBB8_247
.LBB8_250:                              ;   in Loop: Header=BB8_21 Depth=2
	s_inst_prefetch 0x2
	s_or_b32 exec_lo, exec_lo, s9
	s_add_i32 s68, s68, 1
	s_add_i32 s97, s97, 1
	;; [unrolled: 1-line block ×3, first 2 shown]
	s_cmp_ge_i32 s68, s16
	s_waitcnt_vscnt null, 0x0
	s_barrier
	s_cselect_b32 s26, -1, 0
	s_mov_b32 s8, s93
	buffer_gl0_inv
	s_and_b32 vcc_lo, exec_lo, s26
	s_cbranch_vccnz .LBB8_10
.LBB8_251:                              ;   in Loop: Header=BB8_21 Depth=2
	v_mov_b32_e32 v1, v28
	s_branch .LBB8_21
.LBB8_252:
	s_and_saveexec_b32 s1, s0
	s_cbranch_execz .LBB8_254
; %bb.253:
	v_mov_b32_e32 v0, 0
	s_add_u32 s0, s30, s34
	s_addc_u32 s1, s31, s35
	ds_read_b32 v1, v0
	s_waitcnt lgkmcnt(0)
	global_store_dword v0, v1, s[0:1]
.LBB8_254:
	s_endpgm
	.section	.rodata,"a",@progbits
	.p2align	6, 0x0
	.amdhsa_kernel _ZN9rocsolver6v33100L12stein_kernelIffPfEEviPT0_lS4_lPiS4_lS5_lS5_lT1_iilS5_lS5_S4_S5_S3_S3_
		.amdhsa_group_segment_fixed_size 8
		.amdhsa_private_segment_fixed_size 0
		.amdhsa_kernarg_size 168
		.amdhsa_user_sgpr_count 6
		.amdhsa_user_sgpr_private_segment_buffer 1
		.amdhsa_user_sgpr_dispatch_ptr 0
		.amdhsa_user_sgpr_queue_ptr 0
		.amdhsa_user_sgpr_kernarg_segment_ptr 1
		.amdhsa_user_sgpr_dispatch_id 0
		.amdhsa_user_sgpr_flat_scratch_init 0
		.amdhsa_user_sgpr_private_segment_size 0
		.amdhsa_wavefront_size32 1
		.amdhsa_uses_dynamic_stack 0
		.amdhsa_system_sgpr_private_segment_wavefront_offset 0
		.amdhsa_system_sgpr_workgroup_id_x 1
		.amdhsa_system_sgpr_workgroup_id_y 1
		.amdhsa_system_sgpr_workgroup_id_z 0
		.amdhsa_system_sgpr_workgroup_info 0
		.amdhsa_system_vgpr_workitem_id 0
		.amdhsa_next_free_vgpr 40
		.amdhsa_next_free_sgpr 105
		.amdhsa_reserve_vcc 1
		.amdhsa_reserve_flat_scratch 0
		.amdhsa_float_round_mode_32 0
		.amdhsa_float_round_mode_16_64 0
		.amdhsa_float_denorm_mode_32 3
		.amdhsa_float_denorm_mode_16_64 3
		.amdhsa_dx10_clamp 1
		.amdhsa_ieee_mode 1
		.amdhsa_fp16_overflow 0
		.amdhsa_workgroup_processor_mode 1
		.amdhsa_memory_ordered 1
		.amdhsa_forward_progress 1
		.amdhsa_shared_vgpr_count 0
		.amdhsa_exception_fp_ieee_invalid_op 0
		.amdhsa_exception_fp_denorm_src 0
		.amdhsa_exception_fp_ieee_div_zero 0
		.amdhsa_exception_fp_ieee_overflow 0
		.amdhsa_exception_fp_ieee_underflow 0
		.amdhsa_exception_fp_ieee_inexact 0
		.amdhsa_exception_int_div_zero 0
	.end_amdhsa_kernel
	.section	.text._ZN9rocsolver6v33100L12stein_kernelIffPfEEviPT0_lS4_lPiS4_lS5_lS5_lT1_iilS5_lS5_S4_S5_S3_S3_,"axG",@progbits,_ZN9rocsolver6v33100L12stein_kernelIffPfEEviPT0_lS4_lPiS4_lS5_lS5_lT1_iilS5_lS5_S4_S5_S3_S3_,comdat
.Lfunc_end8:
	.size	_ZN9rocsolver6v33100L12stein_kernelIffPfEEviPT0_lS4_lPiS4_lS5_lS5_lT1_iilS5_lS5_S4_S5_S3_S3_, .Lfunc_end8-_ZN9rocsolver6v33100L12stein_kernelIffPfEEviPT0_lS4_lPiS4_lS5_lS5_lT1_iilS5_lS5_S4_S5_S3_S3_
                                        ; -- End function
	.set _ZN9rocsolver6v33100L12stein_kernelIffPfEEviPT0_lS4_lPiS4_lS5_lS5_lT1_iilS5_lS5_S4_S5_S3_S3_.num_vgpr, 40
	.set _ZN9rocsolver6v33100L12stein_kernelIffPfEEviPT0_lS4_lPiS4_lS5_lS5_lT1_iilS5_lS5_S4_S5_S3_S3_.num_agpr, 0
	.set _ZN9rocsolver6v33100L12stein_kernelIffPfEEviPT0_lS4_lPiS4_lS5_lS5_lT1_iilS5_lS5_S4_S5_S3_S3_.numbered_sgpr, 105
	.set _ZN9rocsolver6v33100L12stein_kernelIffPfEEviPT0_lS4_lPiS4_lS5_lS5_lT1_iilS5_lS5_S4_S5_S3_S3_.num_named_barrier, 0
	.set _ZN9rocsolver6v33100L12stein_kernelIffPfEEviPT0_lS4_lPiS4_lS5_lS5_lT1_iilS5_lS5_S4_S5_S3_S3_.private_seg_size, 0
	.set _ZN9rocsolver6v33100L12stein_kernelIffPfEEviPT0_lS4_lPiS4_lS5_lS5_lT1_iilS5_lS5_S4_S5_S3_S3_.uses_vcc, 1
	.set _ZN9rocsolver6v33100L12stein_kernelIffPfEEviPT0_lS4_lPiS4_lS5_lS5_lT1_iilS5_lS5_S4_S5_S3_S3_.uses_flat_scratch, 0
	.set _ZN9rocsolver6v33100L12stein_kernelIffPfEEviPT0_lS4_lPiS4_lS5_lS5_lT1_iilS5_lS5_S4_S5_S3_S3_.has_dyn_sized_stack, 0
	.set _ZN9rocsolver6v33100L12stein_kernelIffPfEEviPT0_lS4_lPiS4_lS5_lS5_lT1_iilS5_lS5_S4_S5_S3_S3_.has_recursion, 0
	.set _ZN9rocsolver6v33100L12stein_kernelIffPfEEviPT0_lS4_lPiS4_lS5_lS5_lT1_iilS5_lS5_S4_S5_S3_S3_.has_indirect_call, 0
	.section	.AMDGPU.csdata,"",@progbits
; Kernel info:
; codeLenInByte = 9720
; TotalNumSgprs: 107
; NumVgprs: 40
; ScratchSize: 0
; MemoryBound: 0
; FloatMode: 240
; IeeeMode: 1
; LDSByteSize: 8 bytes/workgroup (compile time only)
; SGPRBlocks: 0
; VGPRBlocks: 4
; NumSGPRsForWavesPerEU: 107
; NumVGPRsForWavesPerEU: 40
; Occupancy: 16
; WaveLimiterHint : 1
; COMPUTE_PGM_RSRC2:SCRATCH_EN: 0
; COMPUTE_PGM_RSRC2:USER_SGPR: 6
; COMPUTE_PGM_RSRC2:TRAP_HANDLER: 0
; COMPUTE_PGM_RSRC2:TGID_X_EN: 1
; COMPUTE_PGM_RSRC2:TGID_Y_EN: 1
; COMPUTE_PGM_RSRC2:TGID_Z_EN: 0
; COMPUTE_PGM_RSRC2:TIDIG_COMP_CNT: 0
	.text
	.p2align	2                               ; -- Begin function __ockl_fprintf_append_string_n
	.type	__ockl_fprintf_append_string_n,@function
__ockl_fprintf_append_string_n:         ; @__ockl_fprintf_append_string_n
; %bb.0:
	s_waitcnt vmcnt(0) expcnt(0) lgkmcnt(0)
	v_mov_b32_e32 v7, v2
	v_or_b32_e32 v2, 2, v0
	v_cmp_eq_u32_e32 vcc_lo, 0, v6
	v_mov_b32_e32 v8, v3
	v_mbcnt_lo_u32_b32 v33, -1, 0
	s_mov_b32 s15, 0
	s_mov_b32 s4, exec_lo
	v_cndmask_b32_e32 v0, v2, v0, vcc_lo
	v_cmpx_ne_u64_e32 0, v[7:8]
	s_xor_b32 s14, exec_lo, s4
	s_cbranch_execz .LBB9_86
; %bb.1:
	s_load_dwordx2 s[6:7], s[8:9], 0x50
	v_and_b32_e32 v6, 2, v0
	v_mov_b32_e32 v10, 0
	v_and_b32_e32 v0, -3, v0
	v_mov_b32_e32 v11, 2
	v_mov_b32_e32 v12, 1
	s_mov_b32 s16, 0
	s_branch .LBB9_3
.LBB9_2:                                ;   in Loop: Header=BB9_3 Depth=1
	s_or_b32 exec_lo, exec_lo, s12
	v_sub_co_u32 v4, vcc_lo, v4, v29
	v_sub_co_ci_u32_e64 v5, null, v5, v30, vcc_lo
	v_add_co_u32 v7, s4, v7, v29
	v_add_co_ci_u32_e64 v8, null, v8, v30, s4
	v_cmp_eq_u64_e32 vcc_lo, 0, v[4:5]
	s_or_b32 s16, vcc_lo, s16
	s_andn2_b32 exec_lo, exec_lo, s16
	s_cbranch_execz .LBB9_85
.LBB9_3:                                ; =>This Loop Header: Depth=1
                                        ;     Child Loop BB9_6 Depth 2
                                        ;     Child Loop BB9_14 Depth 2
	;; [unrolled: 1-line block ×11, first 2 shown]
	v_cmp_gt_u64_e32 vcc_lo, 56, v[4:5]
	s_mov_b32 s5, exec_lo
	v_cndmask_b32_e32 v30, 0, v5, vcc_lo
	v_cndmask_b32_e32 v29, 56, v4, vcc_lo
	v_add_co_u32 v15, vcc_lo, v7, 8
	v_add_co_ci_u32_e64 v16, null, 0, v8, vcc_lo
	v_cmpx_gt_u64_e32 8, v[4:5]
	s_xor_b32 s5, exec_lo, s5
	s_cbranch_execz .LBB9_9
; %bb.4:                                ;   in Loop: Header=BB9_3 Depth=1
	s_waitcnt vmcnt(0)
	v_mov_b32_e32 v2, 0
	v_mov_b32_e32 v3, 0
	s_mov_b32 s12, exec_lo
	v_cmpx_ne_u64_e32 0, v[4:5]
	s_cbranch_execz .LBB9_8
; %bb.5:                                ;   in Loop: Header=BB9_3 Depth=1
	v_lshlrev_b64 v[13:14], 3, v[29:30]
	v_mov_b32_e32 v2, 0
	v_mov_b32_e32 v15, v8
	;; [unrolled: 1-line block ×4, first 2 shown]
	s_mov_b64 s[10:11], 0
	s_mov_b32 s13, 0
	.p2align	6
.LBB9_6:                                ;   Parent Loop BB9_3 Depth=1
                                        ; =>  This Inner Loop Header: Depth=2
	global_load_ubyte v9, v[14:15], off
	v_mov_b32_e32 v17, s15
	v_add_co_u32 v14, vcc_lo, v14, 1
	v_add_co_ci_u32_e64 v15, null, 0, v15, vcc_lo
	s_waitcnt vmcnt(0)
	v_and_b32_e32 v16, 0xffff, v9
	v_lshlrev_b64 v[16:17], s10, v[16:17]
	s_add_u32 s10, s10, 8
	s_addc_u32 s11, s11, 0
	v_cmp_eq_u32_e64 s4, s10, v13
	v_or_b32_e32 v3, v17, v3
	v_or_b32_e32 v2, v16, v2
	s_or_b32 s13, s4, s13
	s_andn2_b32 exec_lo, exec_lo, s13
	s_cbranch_execnz .LBB9_6
; %bb.7:                                ;   in Loop: Header=BB9_3 Depth=1
	s_or_b32 exec_lo, exec_lo, s13
.LBB9_8:                                ;   in Loop: Header=BB9_3 Depth=1
	s_or_b32 exec_lo, exec_lo, s12
	v_mov_b32_e32 v16, v8
	v_mov_b32_e32 v15, v7
.LBB9_9:                                ;   in Loop: Header=BB9_3 Depth=1
	s_or_saveexec_b32 s4, s5
	v_mov_b32_e32 v9, 0
	s_xor_b32 exec_lo, exec_lo, s4
	s_cbranch_execz .LBB9_11
; %bb.10:                               ;   in Loop: Header=BB9_3 Depth=1
	global_load_dwordx2 v[2:3], v[7:8], off
	v_add_nc_u32_e32 v9, -8, v29
.LBB9_11:                               ;   in Loop: Header=BB9_3 Depth=1
	s_or_b32 exec_lo, exec_lo, s4
	v_add_co_u32 v17, s4, v15, 8
	v_add_co_ci_u32_e64 v18, null, 0, v16, s4
                                        ; implicit-def: $vgpr13_vgpr14
	s_mov_b32 s4, exec_lo
	v_cmpx_gt_u32_e32 8, v9
	s_xor_b32 s12, exec_lo, s4
	s_cbranch_execz .LBB9_17
; %bb.12:                               ;   in Loop: Header=BB9_3 Depth=1
	v_mov_b32_e32 v13, 0
	v_mov_b32_e32 v14, 0
	s_mov_b32 s13, exec_lo
	v_cmpx_ne_u32_e32 0, v9
	s_cbranch_execz .LBB9_16
; %bb.13:                               ;   in Loop: Header=BB9_3 Depth=1
	v_mov_b32_e32 v13, 0
	v_mov_b32_e32 v14, 0
	s_mov_b64 s[4:5], 0
	s_mov_b32 s17, 0
	s_mov_b64 s[10:11], 0
	.p2align	6
.LBB9_14:                               ;   Parent Loop BB9_3 Depth=1
                                        ; =>  This Inner Loop Header: Depth=2
	v_add_co_u32 v17, vcc_lo, v15, s10
	v_add_co_ci_u32_e64 v18, null, s11, v16, vcc_lo
	s_add_u32 s10, s10, 1
	s_addc_u32 s11, s11, 0
	v_cmp_eq_u32_e32 vcc_lo, s10, v9
	global_load_ubyte v17, v[17:18], off
	v_mov_b32_e32 v18, s15
	s_waitcnt vmcnt(0)
	v_and_b32_e32 v17, 0xffff, v17
	v_lshlrev_b64 v[17:18], s4, v[17:18]
	s_add_u32 s4, s4, 8
	s_addc_u32 s5, s5, 0
	s_or_b32 s17, vcc_lo, s17
	v_or_b32_e32 v14, v18, v14
	v_or_b32_e32 v13, v17, v13
	s_andn2_b32 exec_lo, exec_lo, s17
	s_cbranch_execnz .LBB9_14
; %bb.15:                               ;   in Loop: Header=BB9_3 Depth=1
	s_or_b32 exec_lo, exec_lo, s17
.LBB9_16:                               ;   in Loop: Header=BB9_3 Depth=1
	s_or_b32 exec_lo, exec_lo, s13
	v_mov_b32_e32 v18, v16
	v_mov_b32_e32 v17, v15
                                        ; implicit-def: $vgpr9
.LBB9_17:                               ;   in Loop: Header=BB9_3 Depth=1
	s_or_saveexec_b32 s4, s12
	v_mov_b32_e32 v21, 0
	s_xor_b32 exec_lo, exec_lo, s4
	s_cbranch_execz .LBB9_19
; %bb.18:                               ;   in Loop: Header=BB9_3 Depth=1
	global_load_dwordx2 v[13:14], v[15:16], off
	v_add_nc_u32_e32 v21, -8, v9
.LBB9_19:                               ;   in Loop: Header=BB9_3 Depth=1
	s_or_b32 exec_lo, exec_lo, s4
	v_add_co_u32 v19, s4, v17, 8
	v_add_co_ci_u32_e64 v20, null, 0, v18, s4
	s_mov_b32 s4, exec_lo
	v_cmpx_gt_u32_e32 8, v21
	s_xor_b32 s12, exec_lo, s4
	s_cbranch_execz .LBB9_25
; %bb.20:                               ;   in Loop: Header=BB9_3 Depth=1
	v_mov_b32_e32 v15, 0
	v_mov_b32_e32 v16, 0
	s_mov_b32 s13, exec_lo
	v_cmpx_ne_u32_e32 0, v21
	s_cbranch_execz .LBB9_24
; %bb.21:                               ;   in Loop: Header=BB9_3 Depth=1
	v_mov_b32_e32 v15, 0
	v_mov_b32_e32 v16, 0
	s_mov_b64 s[4:5], 0
	s_mov_b32 s17, 0
	s_mov_b64 s[10:11], 0
	.p2align	6
.LBB9_22:                               ;   Parent Loop BB9_3 Depth=1
                                        ; =>  This Inner Loop Header: Depth=2
	v_add_co_u32 v19, vcc_lo, v17, s10
	v_add_co_ci_u32_e64 v20, null, s11, v18, vcc_lo
	s_add_u32 s10, s10, 1
	s_addc_u32 s11, s11, 0
	v_cmp_eq_u32_e32 vcc_lo, s10, v21
	global_load_ubyte v9, v[19:20], off
	v_mov_b32_e32 v20, s15
	s_waitcnt vmcnt(0)
	v_and_b32_e32 v19, 0xffff, v9
	v_lshlrev_b64 v[19:20], s4, v[19:20]
	s_add_u32 s4, s4, 8
	s_addc_u32 s5, s5, 0
	s_or_b32 s17, vcc_lo, s17
	v_or_b32_e32 v16, v20, v16
	v_or_b32_e32 v15, v19, v15
	s_andn2_b32 exec_lo, exec_lo, s17
	s_cbranch_execnz .LBB9_22
; %bb.23:                               ;   in Loop: Header=BB9_3 Depth=1
	s_or_b32 exec_lo, exec_lo, s17
.LBB9_24:                               ;   in Loop: Header=BB9_3 Depth=1
	s_or_b32 exec_lo, exec_lo, s13
	v_mov_b32_e32 v20, v18
	v_mov_b32_e32 v19, v17
                                        ; implicit-def: $vgpr21
.LBB9_25:                               ;   in Loop: Header=BB9_3 Depth=1
	s_or_saveexec_b32 s4, s12
	v_mov_b32_e32 v9, 0
	s_xor_b32 exec_lo, exec_lo, s4
	s_cbranch_execz .LBB9_27
; %bb.26:                               ;   in Loop: Header=BB9_3 Depth=1
	global_load_dwordx2 v[15:16], v[17:18], off
	v_add_nc_u32_e32 v9, -8, v21
.LBB9_27:                               ;   in Loop: Header=BB9_3 Depth=1
	s_or_b32 exec_lo, exec_lo, s4
	v_add_co_u32 v21, s4, v19, 8
	v_add_co_ci_u32_e64 v22, null, 0, v20, s4
                                        ; implicit-def: $vgpr17_vgpr18
	s_mov_b32 s4, exec_lo
	v_cmpx_gt_u32_e32 8, v9
	s_xor_b32 s12, exec_lo, s4
	s_cbranch_execz .LBB9_33
; %bb.28:                               ;   in Loop: Header=BB9_3 Depth=1
	v_mov_b32_e32 v17, 0
	v_mov_b32_e32 v18, 0
	s_mov_b32 s13, exec_lo
	v_cmpx_ne_u32_e32 0, v9
	s_cbranch_execz .LBB9_32
; %bb.29:                               ;   in Loop: Header=BB9_3 Depth=1
	v_mov_b32_e32 v17, 0
	v_mov_b32_e32 v18, 0
	s_mov_b64 s[4:5], 0
	s_mov_b32 s17, 0
	s_mov_b64 s[10:11], 0
	.p2align	6
.LBB9_30:                               ;   Parent Loop BB9_3 Depth=1
                                        ; =>  This Inner Loop Header: Depth=2
	v_add_co_u32 v21, vcc_lo, v19, s10
	v_add_co_ci_u32_e64 v22, null, s11, v20, vcc_lo
	s_add_u32 s10, s10, 1
	s_addc_u32 s11, s11, 0
	v_cmp_eq_u32_e32 vcc_lo, s10, v9
	global_load_ubyte v21, v[21:22], off
	v_mov_b32_e32 v22, s15
	s_waitcnt vmcnt(0)
	v_and_b32_e32 v21, 0xffff, v21
	v_lshlrev_b64 v[21:22], s4, v[21:22]
	s_add_u32 s4, s4, 8
	s_addc_u32 s5, s5, 0
	s_or_b32 s17, vcc_lo, s17
	v_or_b32_e32 v18, v22, v18
	v_or_b32_e32 v17, v21, v17
	s_andn2_b32 exec_lo, exec_lo, s17
	s_cbranch_execnz .LBB9_30
; %bb.31:                               ;   in Loop: Header=BB9_3 Depth=1
	s_or_b32 exec_lo, exec_lo, s17
.LBB9_32:                               ;   in Loop: Header=BB9_3 Depth=1
	s_or_b32 exec_lo, exec_lo, s13
	v_mov_b32_e32 v22, v20
	v_mov_b32_e32 v21, v19
                                        ; implicit-def: $vgpr9
.LBB9_33:                               ;   in Loop: Header=BB9_3 Depth=1
	s_or_saveexec_b32 s4, s12
	v_mov_b32_e32 v25, 0
	s_xor_b32 exec_lo, exec_lo, s4
	s_cbranch_execz .LBB9_35
; %bb.34:                               ;   in Loop: Header=BB9_3 Depth=1
	global_load_dwordx2 v[17:18], v[19:20], off
	v_add_nc_u32_e32 v25, -8, v9
.LBB9_35:                               ;   in Loop: Header=BB9_3 Depth=1
	s_or_b32 exec_lo, exec_lo, s4
	v_add_co_u32 v23, s4, v21, 8
	v_add_co_ci_u32_e64 v24, null, 0, v22, s4
	s_mov_b32 s4, exec_lo
	v_cmpx_gt_u32_e32 8, v25
	s_xor_b32 s12, exec_lo, s4
	s_cbranch_execz .LBB9_41
; %bb.36:                               ;   in Loop: Header=BB9_3 Depth=1
	v_mov_b32_e32 v19, 0
	v_mov_b32_e32 v20, 0
	s_mov_b32 s13, exec_lo
	v_cmpx_ne_u32_e32 0, v25
	s_cbranch_execz .LBB9_40
; %bb.37:                               ;   in Loop: Header=BB9_3 Depth=1
	v_mov_b32_e32 v19, 0
	v_mov_b32_e32 v20, 0
	s_mov_b64 s[4:5], 0
	s_mov_b32 s17, 0
	s_mov_b64 s[10:11], 0
	.p2align	6
.LBB9_38:                               ;   Parent Loop BB9_3 Depth=1
                                        ; =>  This Inner Loop Header: Depth=2
	v_add_co_u32 v23, vcc_lo, v21, s10
	v_add_co_ci_u32_e64 v24, null, s11, v22, vcc_lo
	s_add_u32 s10, s10, 1
	s_addc_u32 s11, s11, 0
	v_cmp_eq_u32_e32 vcc_lo, s10, v25
	global_load_ubyte v9, v[23:24], off
	v_mov_b32_e32 v24, s15
	s_waitcnt vmcnt(0)
	v_and_b32_e32 v23, 0xffff, v9
	v_lshlrev_b64 v[23:24], s4, v[23:24]
	s_add_u32 s4, s4, 8
	s_addc_u32 s5, s5, 0
	s_or_b32 s17, vcc_lo, s17
	v_or_b32_e32 v20, v24, v20
	v_or_b32_e32 v19, v23, v19
	s_andn2_b32 exec_lo, exec_lo, s17
	s_cbranch_execnz .LBB9_38
; %bb.39:                               ;   in Loop: Header=BB9_3 Depth=1
	s_or_b32 exec_lo, exec_lo, s17
.LBB9_40:                               ;   in Loop: Header=BB9_3 Depth=1
	s_or_b32 exec_lo, exec_lo, s13
	v_mov_b32_e32 v24, v22
	v_mov_b32_e32 v23, v21
                                        ; implicit-def: $vgpr25
.LBB9_41:                               ;   in Loop: Header=BB9_3 Depth=1
	s_or_saveexec_b32 s4, s12
	v_mov_b32_e32 v9, 0
	s_xor_b32 exec_lo, exec_lo, s4
	s_cbranch_execz .LBB9_43
; %bb.42:                               ;   in Loop: Header=BB9_3 Depth=1
	global_load_dwordx2 v[19:20], v[21:22], off
	v_add_nc_u32_e32 v9, -8, v25
.LBB9_43:                               ;   in Loop: Header=BB9_3 Depth=1
	s_or_b32 exec_lo, exec_lo, s4
	v_add_co_u32 v25, s4, v23, 8
	v_add_co_ci_u32_e64 v26, null, 0, v24, s4
                                        ; implicit-def: $vgpr21_vgpr22
	s_mov_b32 s4, exec_lo
	v_cmpx_gt_u32_e32 8, v9
	s_xor_b32 s12, exec_lo, s4
	s_cbranch_execz .LBB9_49
; %bb.44:                               ;   in Loop: Header=BB9_3 Depth=1
	v_mov_b32_e32 v21, 0
	v_mov_b32_e32 v22, 0
	s_mov_b32 s13, exec_lo
	v_cmpx_ne_u32_e32 0, v9
	s_cbranch_execz .LBB9_48
; %bb.45:                               ;   in Loop: Header=BB9_3 Depth=1
	v_mov_b32_e32 v21, 0
	v_mov_b32_e32 v22, 0
	s_mov_b64 s[4:5], 0
	s_mov_b32 s17, 0
	s_mov_b64 s[10:11], 0
	.p2align	6
.LBB9_46:                               ;   Parent Loop BB9_3 Depth=1
                                        ; =>  This Inner Loop Header: Depth=2
	v_add_co_u32 v25, vcc_lo, v23, s10
	v_add_co_ci_u32_e64 v26, null, s11, v24, vcc_lo
	s_add_u32 s10, s10, 1
	s_addc_u32 s11, s11, 0
	v_cmp_eq_u32_e32 vcc_lo, s10, v9
	global_load_ubyte v25, v[25:26], off
	v_mov_b32_e32 v26, s15
	s_waitcnt vmcnt(0)
	v_and_b32_e32 v25, 0xffff, v25
	v_lshlrev_b64 v[25:26], s4, v[25:26]
	s_add_u32 s4, s4, 8
	s_addc_u32 s5, s5, 0
	s_or_b32 s17, vcc_lo, s17
	v_or_b32_e32 v22, v26, v22
	v_or_b32_e32 v21, v25, v21
	s_andn2_b32 exec_lo, exec_lo, s17
	s_cbranch_execnz .LBB9_46
; %bb.47:                               ;   in Loop: Header=BB9_3 Depth=1
	s_or_b32 exec_lo, exec_lo, s17
.LBB9_48:                               ;   in Loop: Header=BB9_3 Depth=1
	s_or_b32 exec_lo, exec_lo, s13
	v_mov_b32_e32 v26, v24
	v_mov_b32_e32 v25, v23
                                        ; implicit-def: $vgpr9
.LBB9_49:                               ;   in Loop: Header=BB9_3 Depth=1
	s_or_saveexec_b32 s4, s12
	v_mov_b32_e32 v27, 0
	s_xor_b32 exec_lo, exec_lo, s4
	s_cbranch_execz .LBB9_51
; %bb.50:                               ;   in Loop: Header=BB9_3 Depth=1
	global_load_dwordx2 v[21:22], v[23:24], off
	v_add_nc_u32_e32 v27, -8, v9
.LBB9_51:                               ;   in Loop: Header=BB9_3 Depth=1
	s_or_b32 exec_lo, exec_lo, s4
	s_mov_b32 s4, exec_lo
	v_cmpx_gt_u32_e32 8, v27
	s_xor_b32 s10, exec_lo, s4
	s_cbranch_execz .LBB9_57
; %bb.52:                               ;   in Loop: Header=BB9_3 Depth=1
	v_mov_b32_e32 v23, 0
	v_mov_b32_e32 v24, 0
	s_mov_b32 s11, exec_lo
	v_cmpx_ne_u32_e32 0, v27
	s_cbranch_execz .LBB9_56
; %bb.53:                               ;   in Loop: Header=BB9_3 Depth=1
	v_mov_b32_e32 v23, 0
	v_mov_b32_e32 v24, 0
	s_mov_b64 s[4:5], 0
	s_mov_b32 s12, 0
	.p2align	6
.LBB9_54:                               ;   Parent Loop BB9_3 Depth=1
                                        ; =>  This Inner Loop Header: Depth=2
	global_load_ubyte v9, v[25:26], off
	v_mov_b32_e32 v32, s15
	v_add_nc_u32_e32 v27, -1, v27
	v_add_co_u32 v25, vcc_lo, v25, 1
	v_add_co_ci_u32_e64 v26, null, 0, v26, vcc_lo
	v_cmp_eq_u32_e32 vcc_lo, 0, v27
	s_waitcnt vmcnt(0)
	v_and_b32_e32 v31, 0xffff, v9
	v_lshlrev_b64 v[31:32], s4, v[31:32]
	s_add_u32 s4, s4, 8
	s_addc_u32 s5, s5, 0
	s_or_b32 s12, vcc_lo, s12
	v_or_b32_e32 v24, v32, v24
	v_or_b32_e32 v23, v31, v23
	s_andn2_b32 exec_lo, exec_lo, s12
	s_cbranch_execnz .LBB9_54
; %bb.55:                               ;   in Loop: Header=BB9_3 Depth=1
	s_or_b32 exec_lo, exec_lo, s12
.LBB9_56:                               ;   in Loop: Header=BB9_3 Depth=1
	s_or_b32 exec_lo, exec_lo, s11
                                        ; implicit-def: $vgpr25_vgpr26
.LBB9_57:                               ;   in Loop: Header=BB9_3 Depth=1
	s_andn2_saveexec_b32 s4, s10
	s_cbranch_execz .LBB9_59
; %bb.58:                               ;   in Loop: Header=BB9_3 Depth=1
	global_load_dwordx2 v[23:24], v[25:26], off
.LBB9_59:                               ;   in Loop: Header=BB9_3 Depth=1
	s_or_b32 exec_lo, exec_lo, s4
	v_readfirstlane_b32 s4, v33
	v_mov_b32_e32 v31, 0
	v_mov_b32_e32 v32, 0
	v_cmp_eq_u32_e64 s4, s4, v33
	s_and_saveexec_b32 s5, s4
	s_cbranch_execz .LBB9_65
; %bb.60:                               ;   in Loop: Header=BB9_3 Depth=1
	s_waitcnt lgkmcnt(0)
	global_load_dwordx2 v[27:28], v10, s[6:7] offset:24 glc dlc
	s_waitcnt vmcnt(0)
	buffer_gl1_inv
	buffer_gl0_inv
	s_clause 0x1
	global_load_dwordx2 v[25:26], v10, s[6:7] offset:40
	global_load_dwordx2 v[31:32], v10, s[6:7]
	s_mov_b32 s10, exec_lo
	s_waitcnt vmcnt(1)
	v_and_b32_e32 v9, v26, v28
	v_and_b32_e32 v25, v25, v27
	v_mul_lo_u32 v9, v9, 24
	v_mul_hi_u32 v26, v25, 24
	v_mul_lo_u32 v25, v25, 24
	v_add_nc_u32_e32 v9, v26, v9
	s_waitcnt vmcnt(0)
	v_add_co_u32 v25, vcc_lo, v31, v25
	v_add_co_ci_u32_e64 v26, null, v32, v9, vcc_lo
	global_load_dwordx2 v[25:26], v[25:26], off glc dlc
	s_waitcnt vmcnt(0)
	global_atomic_cmpswap_x2 v[31:32], v10, v[25:28], s[6:7] offset:24 glc
	s_waitcnt vmcnt(0)
	buffer_gl1_inv
	buffer_gl0_inv
	v_cmpx_ne_u64_e64 v[31:32], v[27:28]
	s_cbranch_execz .LBB9_64
; %bb.61:                               ;   in Loop: Header=BB9_3 Depth=1
	s_mov_b32 s11, 0
	.p2align	6
.LBB9_62:                               ;   Parent Loop BB9_3 Depth=1
                                        ; =>  This Inner Loop Header: Depth=2
	s_sleep 1
	s_clause 0x1
	global_load_dwordx2 v[25:26], v10, s[6:7] offset:40
	global_load_dwordx2 v[34:35], v10, s[6:7]
	v_mov_b32_e32 v27, v31
	v_mov_b32_e32 v28, v32
	s_waitcnt vmcnt(1)
	v_and_b32_e32 v9, v25, v27
	v_and_b32_e32 v25, v26, v28
	s_waitcnt vmcnt(0)
	v_mad_u64_u32 v[31:32], null, v9, 24, v[34:35]
	v_mov_b32_e32 v9, v32
	v_mad_u64_u32 v[25:26], null, v25, 24, v[9:10]
	v_mov_b32_e32 v32, v25
	global_load_dwordx2 v[25:26], v[31:32], off glc dlc
	s_waitcnt vmcnt(0)
	global_atomic_cmpswap_x2 v[31:32], v10, v[25:28], s[6:7] offset:24 glc
	s_waitcnt vmcnt(0)
	buffer_gl1_inv
	buffer_gl0_inv
	v_cmp_eq_u64_e32 vcc_lo, v[31:32], v[27:28]
	s_or_b32 s11, vcc_lo, s11
	s_andn2_b32 exec_lo, exec_lo, s11
	s_cbranch_execnz .LBB9_62
; %bb.63:                               ;   in Loop: Header=BB9_3 Depth=1
	s_or_b32 exec_lo, exec_lo, s11
.LBB9_64:                               ;   in Loop: Header=BB9_3 Depth=1
	s_or_b32 exec_lo, exec_lo, s10
.LBB9_65:                               ;   in Loop: Header=BB9_3 Depth=1
	s_or_b32 exec_lo, exec_lo, s5
	s_waitcnt lgkmcnt(0)
	s_clause 0x1
	global_load_dwordx2 v[34:35], v10, s[6:7] offset:40
	global_load_dwordx4 v[25:28], v10, s[6:7]
	v_readfirstlane_b32 s11, v32
	v_readfirstlane_b32 s10, v31
	s_mov_b32 s5, exec_lo
	s_waitcnt vmcnt(1)
	v_readfirstlane_b32 s12, v34
	v_readfirstlane_b32 s13, v35
	s_and_b64 s[12:13], s[12:13], s[10:11]
	s_mul_i32 s17, s13, 24
	s_mul_hi_u32 s18, s12, 24
	s_mul_i32 s19, s12, 24
	s_add_i32 s18, s18, s17
	s_waitcnt vmcnt(0)
	v_add_co_u32 v31, vcc_lo, v25, s19
	v_add_co_ci_u32_e64 v32, null, s18, v26, vcc_lo
	s_and_saveexec_b32 s17, s4
	s_cbranch_execz .LBB9_67
; %bb.66:                               ;   in Loop: Header=BB9_3 Depth=1
	v_mov_b32_e32 v9, s5
	global_store_dwordx4 v[31:32], v[9:12], off offset:8
.LBB9_67:                               ;   in Loop: Header=BB9_3 Depth=1
	s_or_b32 exec_lo, exec_lo, s17
	v_cmp_gt_u64_e32 vcc_lo, 57, v[4:5]
	s_lshl_b64 s[12:13], s[12:13], 12
	v_and_b32_e32 v0, 0xffffff1f, v0
	v_lshl_add_u32 v35, v29, 2, 28
	v_lshlrev_b32_e32 v34, 6, v33
	v_cndmask_b32_e32 v9, 0, v6, vcc_lo
	v_add_co_u32 v27, vcc_lo, v27, s12
	v_add_co_ci_u32_e64 v28, null, s13, v28, vcc_lo
	v_or_b32_e32 v0, v0, v9
	v_readfirstlane_b32 s12, v27
	v_readfirstlane_b32 s13, v28
	v_and_or_b32 v0, 0x1e0, v35, v0
	global_store_dwordx4 v34, v[13:16], s[12:13] offset:16
	global_store_dwordx4 v34, v[0:3], s[12:13]
	global_store_dwordx4 v34, v[17:20], s[12:13] offset:32
	global_store_dwordx4 v34, v[21:24], s[12:13] offset:48
	s_and_saveexec_b32 s5, s4
	s_cbranch_execz .LBB9_75
; %bb.68:                               ;   in Loop: Header=BB9_3 Depth=1
	s_clause 0x1
	global_load_dwordx2 v[17:18], v10, s[6:7] offset:32 glc dlc
	global_load_dwordx2 v[0:1], v10, s[6:7] offset:40
	v_mov_b32_e32 v15, s10
	v_mov_b32_e32 v16, s11
	s_waitcnt vmcnt(0)
	v_readfirstlane_b32 s12, v0
	v_readfirstlane_b32 s13, v1
	s_and_b64 s[12:13], s[12:13], s[10:11]
	s_mul_i32 s13, s13, 24
	s_mul_hi_u32 s17, s12, 24
	s_mul_i32 s12, s12, 24
	s_add_i32 s17, s17, s13
	v_add_co_u32 v13, vcc_lo, v25, s12
	v_add_co_ci_u32_e64 v14, null, s17, v26, vcc_lo
	s_mov_b32 s12, exec_lo
	global_store_dwordx2 v[13:14], v[17:18], off
	s_waitcnt_vscnt null, 0x0
	global_atomic_cmpswap_x2 v[2:3], v10, v[15:18], s[6:7] offset:32 glc
	s_waitcnt vmcnt(0)
	v_cmpx_ne_u64_e64 v[2:3], v[17:18]
	s_cbranch_execz .LBB9_71
; %bb.69:                               ;   in Loop: Header=BB9_3 Depth=1
	s_mov_b32 s13, 0
.LBB9_70:                               ;   Parent Loop BB9_3 Depth=1
                                        ; =>  This Inner Loop Header: Depth=2
	v_mov_b32_e32 v0, s10
	v_mov_b32_e32 v1, s11
	s_sleep 1
	global_store_dwordx2 v[13:14], v[2:3], off
	s_waitcnt_vscnt null, 0x0
	global_atomic_cmpswap_x2 v[0:1], v10, v[0:3], s[6:7] offset:32 glc
	s_waitcnt vmcnt(0)
	v_cmp_eq_u64_e32 vcc_lo, v[0:1], v[2:3]
	v_mov_b32_e32 v3, v1
	v_mov_b32_e32 v2, v0
	s_or_b32 s13, vcc_lo, s13
	s_andn2_b32 exec_lo, exec_lo, s13
	s_cbranch_execnz .LBB9_70
.LBB9_71:                               ;   in Loop: Header=BB9_3 Depth=1
	s_or_b32 exec_lo, exec_lo, s12
	global_load_dwordx2 v[0:1], v10, s[6:7] offset:16
	s_mov_b32 s13, exec_lo
	s_mov_b32 s12, exec_lo
	v_mbcnt_lo_u32_b32 v2, s13, 0
	v_cmpx_eq_u32_e32 0, v2
	s_cbranch_execz .LBB9_73
; %bb.72:                               ;   in Loop: Header=BB9_3 Depth=1
	s_bcnt1_i32_b32 s13, s13
	v_mov_b32_e32 v9, s13
	s_waitcnt vmcnt(0)
	global_atomic_add_x2 v[0:1], v[9:10], off offset:8
.LBB9_73:                               ;   in Loop: Header=BB9_3 Depth=1
	s_or_b32 exec_lo, exec_lo, s12
	s_waitcnt vmcnt(0)
	global_load_dwordx2 v[2:3], v[0:1], off offset:16
	s_waitcnt vmcnt(0)
	v_cmp_eq_u64_e32 vcc_lo, 0, v[2:3]
	s_cbranch_vccnz .LBB9_75
; %bb.74:                               ;   in Loop: Header=BB9_3 Depth=1
	global_load_dword v9, v[0:1], off offset:24
	s_waitcnt vmcnt(0)
	v_readfirstlane_b32 s12, v9
	s_waitcnt_vscnt null, 0x0
	global_store_dwordx2 v[2:3], v[9:10], off
	s_and_b32 m0, s12, 0x7fffff
	s_sendmsg sendmsg(MSG_INTERRUPT)
.LBB9_75:                               ;   in Loop: Header=BB9_3 Depth=1
	s_or_b32 exec_lo, exec_lo, s5
	v_add_co_u32 v0, vcc_lo, v27, v34
	v_add_co_ci_u32_e64 v1, null, 0, v28, vcc_lo
	s_branch .LBB9_79
	.p2align	6
.LBB9_76:                               ;   in Loop: Header=BB9_79 Depth=2
	s_or_b32 exec_lo, exec_lo, s5
	v_readfirstlane_b32 s5, v2
	s_cmp_eq_u32 s5, 0
	s_cbranch_scc1 .LBB9_78
; %bb.77:                               ;   in Loop: Header=BB9_79 Depth=2
	s_sleep 1
	s_cbranch_execnz .LBB9_79
	s_branch .LBB9_81
	.p2align	6
.LBB9_78:                               ;   in Loop: Header=BB9_3 Depth=1
	s_branch .LBB9_81
.LBB9_79:                               ;   Parent Loop BB9_3 Depth=1
                                        ; =>  This Inner Loop Header: Depth=2
	v_mov_b32_e32 v2, 1
	s_and_saveexec_b32 s5, s4
	s_cbranch_execz .LBB9_76
; %bb.80:                               ;   in Loop: Header=BB9_79 Depth=2
	global_load_dword v2, v[31:32], off offset:20 glc dlc
	s_waitcnt vmcnt(0)
	buffer_gl1_inv
	buffer_gl0_inv
	v_and_b32_e32 v2, 1, v2
	s_branch .LBB9_76
.LBB9_81:                               ;   in Loop: Header=BB9_3 Depth=1
	global_load_dwordx4 v[0:3], v[0:1], off
	s_and_saveexec_b32 s12, s4
	s_cbranch_execz .LBB9_2
; %bb.82:                               ;   in Loop: Header=BB9_3 Depth=1
	s_clause 0x2
	global_load_dwordx2 v[2:3], v10, s[6:7] offset:40
	global_load_dwordx2 v[17:18], v10, s[6:7] offset:24 glc dlc
	global_load_dwordx2 v[13:14], v10, s[6:7]
	s_waitcnt vmcnt(2)
	v_readfirstlane_b32 s18, v2
	v_readfirstlane_b32 s19, v3
	s_add_u32 s13, s18, 1
	s_addc_u32 s17, s19, 0
	s_add_u32 s4, s13, s10
	s_addc_u32 s5, s17, s11
	s_cmp_eq_u64 s[4:5], 0
	s_cselect_b32 s5, s17, s5
	s_cselect_b32 s4, s13, s4
	v_mov_b32_e32 v16, s5
	s_and_b64 s[10:11], s[4:5], s[18:19]
	v_mov_b32_e32 v15, s4
	s_mul_i32 s11, s11, 24
	s_mul_hi_u32 s13, s10, 24
	s_mul_i32 s10, s10, 24
	s_add_i32 s13, s13, s11
	s_waitcnt vmcnt(0)
	v_add_co_u32 v2, vcc_lo, v13, s10
	v_add_co_ci_u32_e64 v3, null, s13, v14, vcc_lo
	global_store_dwordx2 v[2:3], v[17:18], off
	s_waitcnt_vscnt null, 0x0
	global_atomic_cmpswap_x2 v[15:16], v10, v[15:18], s[6:7] offset:24 glc
	s_waitcnt vmcnt(0)
	v_cmp_ne_u64_e32 vcc_lo, v[15:16], v[17:18]
	s_and_b32 exec_lo, exec_lo, vcc_lo
	s_cbranch_execz .LBB9_2
; %bb.83:                               ;   in Loop: Header=BB9_3 Depth=1
	s_mov_b32 s10, 0
.LBB9_84:                               ;   Parent Loop BB9_3 Depth=1
                                        ; =>  This Inner Loop Header: Depth=2
	v_mov_b32_e32 v13, s4
	v_mov_b32_e32 v14, s5
	s_sleep 1
	global_store_dwordx2 v[2:3], v[15:16], off
	s_waitcnt_vscnt null, 0x0
	global_atomic_cmpswap_x2 v[13:14], v10, v[13:16], s[6:7] offset:24 glc
	s_waitcnt vmcnt(0)
	v_cmp_eq_u64_e32 vcc_lo, v[13:14], v[15:16]
	v_mov_b32_e32 v16, v14
	v_mov_b32_e32 v15, v13
	s_or_b32 s10, vcc_lo, s10
	s_andn2_b32 exec_lo, exec_lo, s10
	s_cbranch_execnz .LBB9_84
	s_branch .LBB9_2
.LBB9_85:
	s_or_b32 exec_lo, exec_lo, s16
                                        ; implicit-def: $vgpr0
                                        ; implicit-def: $vgpr33
                                        ; implicit-def: $vgpr1
.LBB9_86:
	s_andn2_saveexec_b32 s12, s14
	s_cbranch_execz .LBB9_109
; %bb.87:
	s_load_dwordx2 s[6:7], s[8:9], 0x50
	v_readfirstlane_b32 s4, v33
	v_mov_b32_e32 v8, 0
	v_mov_b32_e32 v9, 0
	v_cmp_eq_u32_e64 s4, s4, v33
	s_and_saveexec_b32 s5, s4
	s_cbranch_execz .LBB9_93
; %bb.88:
	s_waitcnt vmcnt(0)
	v_mov_b32_e32 v2, 0
	s_mov_b32 s8, exec_lo
	s_waitcnt lgkmcnt(0)
	global_load_dwordx2 v[5:6], v2, s[6:7] offset:24 glc dlc
	s_waitcnt vmcnt(0)
	buffer_gl1_inv
	buffer_gl0_inv
	s_clause 0x1
	global_load_dwordx2 v[3:4], v2, s[6:7] offset:40
	global_load_dwordx2 v[7:8], v2, s[6:7]
	s_waitcnt vmcnt(1)
	v_and_b32_e32 v4, v4, v6
	v_and_b32_e32 v3, v3, v5
	v_mul_lo_u32 v4, v4, 24
	v_mul_hi_u32 v9, v3, 24
	v_mul_lo_u32 v3, v3, 24
	v_add_nc_u32_e32 v4, v9, v4
	s_waitcnt vmcnt(0)
	v_add_co_u32 v3, vcc_lo, v7, v3
	v_add_co_ci_u32_e64 v4, null, v8, v4, vcc_lo
	global_load_dwordx2 v[3:4], v[3:4], off glc dlc
	s_waitcnt vmcnt(0)
	global_atomic_cmpswap_x2 v[8:9], v2, v[3:6], s[6:7] offset:24 glc
	s_waitcnt vmcnt(0)
	buffer_gl1_inv
	buffer_gl0_inv
	v_cmpx_ne_u64_e64 v[8:9], v[5:6]
	s_cbranch_execz .LBB9_92
; %bb.89:
	s_mov_b32 s9, 0
	.p2align	6
.LBB9_90:                               ; =>This Inner Loop Header: Depth=1
	s_sleep 1
	s_clause 0x1
	global_load_dwordx2 v[3:4], v2, s[6:7] offset:40
	global_load_dwordx2 v[10:11], v2, s[6:7]
	v_mov_b32_e32 v5, v8
	v_mov_b32_e32 v6, v9
	s_waitcnt vmcnt(1)
	v_and_b32_e32 v3, v3, v5
	v_and_b32_e32 v4, v4, v6
	s_waitcnt vmcnt(0)
	v_mad_u64_u32 v[7:8], null, v3, 24, v[10:11]
	v_mov_b32_e32 v3, v8
	v_mad_u64_u32 v[3:4], null, v4, 24, v[3:4]
	v_mov_b32_e32 v8, v3
	global_load_dwordx2 v[3:4], v[7:8], off glc dlc
	s_waitcnt vmcnt(0)
	global_atomic_cmpswap_x2 v[8:9], v2, v[3:6], s[6:7] offset:24 glc
	s_waitcnt vmcnt(0)
	buffer_gl1_inv
	buffer_gl0_inv
	v_cmp_eq_u64_e32 vcc_lo, v[8:9], v[5:6]
	s_or_b32 s9, vcc_lo, s9
	s_andn2_b32 exec_lo, exec_lo, s9
	s_cbranch_execnz .LBB9_90
; %bb.91:
	s_or_b32 exec_lo, exec_lo, s9
.LBB9_92:
	s_or_b32 exec_lo, exec_lo, s8
.LBB9_93:
	s_or_b32 exec_lo, exec_lo, s5
	s_waitcnt vmcnt(0)
	v_mov_b32_e32 v2, 0
	v_readfirstlane_b32 s9, v9
	v_readfirstlane_b32 s8, v8
	s_mov_b32 s5, exec_lo
	s_waitcnt lgkmcnt(0)
	s_clause 0x1
	global_load_dwordx2 v[10:11], v2, s[6:7] offset:40
	global_load_dwordx4 v[4:7], v2, s[6:7]
	s_waitcnt vmcnt(1)
	v_readfirstlane_b32 s10, v10
	v_readfirstlane_b32 s11, v11
	s_and_b64 s[10:11], s[10:11], s[8:9]
	s_mul_i32 s13, s11, 24
	s_mul_hi_u32 s14, s10, 24
	s_mul_i32 s15, s10, 24
	s_add_i32 s14, s14, s13
	s_waitcnt vmcnt(0)
	v_add_co_u32 v8, vcc_lo, v4, s15
	v_add_co_ci_u32_e64 v9, null, s14, v5, vcc_lo
	s_and_saveexec_b32 s13, s4
	s_cbranch_execz .LBB9_95
; %bb.94:
	v_mov_b32_e32 v10, s5
	v_mov_b32_e32 v11, v2
	v_mov_b32_e32 v12, 2
	v_mov_b32_e32 v13, 1
	global_store_dwordx4 v[8:9], v[10:13], off offset:8
.LBB9_95:
	s_or_b32 exec_lo, exec_lo, s13
	s_lshl_b64 s[10:11], s[10:11], 12
	s_mov_b32 s16, 0
	v_add_co_u32 v6, vcc_lo, v6, s10
	v_add_co_ci_u32_e64 v7, null, s11, v7, vcc_lo
	s_mov_b32 s17, s16
	s_mov_b32 s18, s16
	;; [unrolled: 1-line block ×3, first 2 shown]
	v_and_or_b32 v0, 0xffffff1f, v0, 32
	v_lshlrev_b32_e32 v14, 6, v33
	v_mov_b32_e32 v3, v2
	v_readfirstlane_b32 s10, v6
	v_readfirstlane_b32 s11, v7
	v_mov_b32_e32 v10, s16
	v_mov_b32_e32 v11, s17
	;; [unrolled: 1-line block ×4, first 2 shown]
	global_store_dwordx4 v14, v[0:3], s[10:11]
	global_store_dwordx4 v14, v[10:13], s[10:11] offset:16
	global_store_dwordx4 v14, v[10:13], s[10:11] offset:32
	;; [unrolled: 1-line block ×3, first 2 shown]
	s_and_saveexec_b32 s5, s4
	s_cbranch_execz .LBB9_103
; %bb.96:
	v_mov_b32_e32 v6, 0
	v_mov_b32_e32 v10, s8
	;; [unrolled: 1-line block ×3, first 2 shown]
	s_mov_b32 s10, exec_lo
	s_clause 0x1
	global_load_dwordx2 v[12:13], v6, s[6:7] offset:32 glc dlc
	global_load_dwordx2 v[0:1], v6, s[6:7] offset:40
	s_waitcnt vmcnt(0)
	v_and_b32_e32 v1, s9, v1
	v_and_b32_e32 v0, s8, v0
	v_mul_lo_u32 v1, v1, 24
	v_mul_hi_u32 v2, v0, 24
	v_mul_lo_u32 v0, v0, 24
	v_add_nc_u32_e32 v1, v2, v1
	v_add_co_u32 v4, vcc_lo, v4, v0
	v_add_co_ci_u32_e64 v5, null, v5, v1, vcc_lo
	global_store_dwordx2 v[4:5], v[12:13], off
	s_waitcnt_vscnt null, 0x0
	global_atomic_cmpswap_x2 v[2:3], v6, v[10:13], s[6:7] offset:32 glc
	s_waitcnt vmcnt(0)
	v_cmpx_ne_u64_e64 v[2:3], v[12:13]
	s_cbranch_execz .LBB9_99
; %bb.97:
	s_mov_b32 s11, 0
.LBB9_98:                               ; =>This Inner Loop Header: Depth=1
	v_mov_b32_e32 v0, s8
	v_mov_b32_e32 v1, s9
	s_sleep 1
	global_store_dwordx2 v[4:5], v[2:3], off
	s_waitcnt_vscnt null, 0x0
	global_atomic_cmpswap_x2 v[0:1], v6, v[0:3], s[6:7] offset:32 glc
	s_waitcnt vmcnt(0)
	v_cmp_eq_u64_e32 vcc_lo, v[0:1], v[2:3]
	v_mov_b32_e32 v3, v1
	v_mov_b32_e32 v2, v0
	s_or_b32 s11, vcc_lo, s11
	s_andn2_b32 exec_lo, exec_lo, s11
	s_cbranch_execnz .LBB9_98
.LBB9_99:
	s_or_b32 exec_lo, exec_lo, s10
	v_mov_b32_e32 v3, 0
	s_mov_b32 s11, exec_lo
	s_mov_b32 s10, exec_lo
	v_mbcnt_lo_u32_b32 v2, s11, 0
	global_load_dwordx2 v[0:1], v3, s[6:7] offset:16
	v_cmpx_eq_u32_e32 0, v2
	s_cbranch_execz .LBB9_101
; %bb.100:
	s_bcnt1_i32_b32 s11, s11
	v_mov_b32_e32 v2, s11
	s_waitcnt vmcnt(0)
	global_atomic_add_x2 v[0:1], v[2:3], off offset:8
.LBB9_101:
	s_or_b32 exec_lo, exec_lo, s10
	s_waitcnt vmcnt(0)
	global_load_dwordx2 v[2:3], v[0:1], off offset:16
	s_waitcnt vmcnt(0)
	v_cmp_eq_u64_e32 vcc_lo, 0, v[2:3]
	s_cbranch_vccnz .LBB9_103
; %bb.102:
	global_load_dword v0, v[0:1], off offset:24
	v_mov_b32_e32 v1, 0
	s_waitcnt vmcnt(0)
	v_readfirstlane_b32 s10, v0
	s_waitcnt_vscnt null, 0x0
	global_store_dwordx2 v[2:3], v[0:1], off
	s_and_b32 m0, s10, 0x7fffff
	s_sendmsg sendmsg(MSG_INTERRUPT)
.LBB9_103:
	s_or_b32 exec_lo, exec_lo, s5
	s_branch .LBB9_107
	.p2align	6
.LBB9_104:                              ;   in Loop: Header=BB9_107 Depth=1
	s_or_b32 exec_lo, exec_lo, s5
	v_readfirstlane_b32 s5, v0
	s_cmp_eq_u32 s5, 0
	s_cbranch_scc1 .LBB9_106
; %bb.105:                              ;   in Loop: Header=BB9_107 Depth=1
	s_sleep 1
	s_cbranch_execnz .LBB9_107
	s_branch .LBB9_110
	.p2align	6
.LBB9_106:
	s_branch .LBB9_110
.LBB9_107:                              ; =>This Inner Loop Header: Depth=1
	v_mov_b32_e32 v0, 1
	s_and_saveexec_b32 s5, s4
	s_cbranch_execz .LBB9_104
; %bb.108:                              ;   in Loop: Header=BB9_107 Depth=1
	global_load_dword v0, v[8:9], off offset:20 glc dlc
	s_waitcnt vmcnt(0)
	buffer_gl1_inv
	buffer_gl0_inv
	v_and_b32_e32 v0, 1, v0
	s_branch .LBB9_104
.LBB9_109:
	s_or_b32 exec_lo, exec_lo, s12
	s_waitcnt vmcnt(0) lgkmcnt(0)
	s_setpc_b64 s[30:31]
.LBB9_110:
	s_and_saveexec_b32 s10, s4
	s_cbranch_execz .LBB9_114
; %bb.111:
	v_mov_b32_e32 v6, 0
	s_clause 0x2
	global_load_dwordx2 v[0:1], v6, s[6:7] offset:40
	global_load_dwordx2 v[9:10], v6, s[6:7] offset:24 glc dlc
	global_load_dwordx2 v[2:3], v6, s[6:7]
	s_waitcnt vmcnt(2)
	v_readfirstlane_b32 s14, v0
	v_readfirstlane_b32 s15, v1
	s_add_u32 s11, s14, 1
	s_addc_u32 s13, s15, 0
	s_add_u32 s4, s11, s8
	s_addc_u32 s5, s13, s9
	s_cmp_eq_u64 s[4:5], 0
	s_cselect_b32 s5, s13, s5
	s_cselect_b32 s4, s11, s4
	v_mov_b32_e32 v8, s5
	s_and_b64 s[8:9], s[4:5], s[14:15]
	v_mov_b32_e32 v7, s4
	s_mul_i32 s9, s9, 24
	s_mul_hi_u32 s11, s8, 24
	s_mul_i32 s8, s8, 24
	s_add_i32 s11, s11, s9
	s_waitcnt vmcnt(0)
	v_add_co_u32 v4, vcc_lo, v2, s8
	v_add_co_ci_u32_e64 v5, null, s11, v3, vcc_lo
	global_store_dwordx2 v[4:5], v[9:10], off
	s_waitcnt_vscnt null, 0x0
	global_atomic_cmpswap_x2 v[2:3], v6, v[7:10], s[6:7] offset:24 glc
	s_waitcnt vmcnt(0)
	v_cmp_ne_u64_e32 vcc_lo, v[2:3], v[9:10]
	s_and_b32 exec_lo, exec_lo, vcc_lo
	s_cbranch_execz .LBB9_114
; %bb.112:
	s_mov_b32 s8, 0
.LBB9_113:                              ; =>This Inner Loop Header: Depth=1
	v_mov_b32_e32 v0, s4
	v_mov_b32_e32 v1, s5
	s_sleep 1
	global_store_dwordx2 v[4:5], v[2:3], off
	s_waitcnt_vscnt null, 0x0
	global_atomic_cmpswap_x2 v[0:1], v6, v[0:3], s[6:7] offset:24 glc
	s_waitcnt vmcnt(0)
	v_cmp_eq_u64_e32 vcc_lo, v[0:1], v[2:3]
	v_mov_b32_e32 v3, v1
	v_mov_b32_e32 v2, v0
	s_or_b32 s8, vcc_lo, s8
	s_andn2_b32 exec_lo, exec_lo, s8
	s_cbranch_execnz .LBB9_113
.LBB9_114:
	s_or_b32 exec_lo, exec_lo, s10
	s_or_b32 exec_lo, exec_lo, s12
	s_waitcnt lgkmcnt(0)
	s_setpc_b64 s[30:31]
.Lfunc_end9:
	.size	__ockl_fprintf_append_string_n, .Lfunc_end9-__ockl_fprintf_append_string_n
                                        ; -- End function
	.set .L__ockl_fprintf_append_string_n.num_vgpr, 36
	.set .L__ockl_fprintf_append_string_n.num_agpr, 0
	.set .L__ockl_fprintf_append_string_n.numbered_sgpr, 32
	.set .L__ockl_fprintf_append_string_n.num_named_barrier, 0
	.set .L__ockl_fprintf_append_string_n.private_seg_size, 0
	.set .L__ockl_fprintf_append_string_n.uses_vcc, 1
	.set .L__ockl_fprintf_append_string_n.uses_flat_scratch, 0
	.set .L__ockl_fprintf_append_string_n.has_dyn_sized_stack, 0
	.set .L__ockl_fprintf_append_string_n.has_recursion, 0
	.set .L__ockl_fprintf_append_string_n.has_indirect_call, 0
	.section	.AMDGPU.csdata,"",@progbits
; Function info:
; codeLenInByte = 4532
; TotalNumSgprs: 34
; NumVgprs: 36
; ScratchSize: 0
; MemoryBound: 0
	.text
	.p2align	2                               ; -- Begin function __assert_fail
	.type	__assert_fail,@function
__assert_fail:                          ; @__assert_fail
; %bb.0:
	s_waitcnt vmcnt(0) expcnt(0) lgkmcnt(0)
	s_mov_b32 s20, s33
	s_mov_b32 s33, s32
	s_or_saveexec_b32 s4, -1
	buffer_store_dword v40, off, s[0:3], s33 offset:48 ; 4-byte Folded Spill
	s_mov_b32 exec_lo, s4
	v_writelane_b32 v40, s30, 0
	s_addk_i32 s32, 0x800
	v_writelane_b32 v40, s31, 1
	v_mov_b32_e32 v9, 0
	s_getpc_b64 s[4:5]
	s_add_u32 s4, s4, __const.__assert_fail.fmt@rel32@lo+35
	s_addc_u32 s5, s5, __const.__assert_fail.fmt@rel32@hi+43
	v_mbcnt_lo_u32_b32 v37, -1, 0
	v_mov_b32_e32 v8, v1
	v_mov_b32_e32 v7, v0
	global_load_dwordx4 v[10:13], v9, s[4:5]
	s_getpc_b64 s[4:5]
	s_add_u32 s4, s4, __const.__assert_fail.fmt@rel32@lo+4
	s_addc_u32 s5, s5, __const.__assert_fail.fmt@rel32@hi+12
	s_getpc_b64 s[6:7]
	s_add_u32 s6, s6, __const.__assert_fail.fmt@rel32@lo+20
	s_addc_u32 s7, s7, __const.__assert_fail.fmt@rel32@hi+28
	s_clause 0x1
	s_load_dwordx4 s[12:15], s[4:5], 0x0
	s_load_dwordx4 s[16:19], s[6:7], 0x0
	s_load_dwordx2 s[6:7], s[8:9], 0x50
	v_readfirstlane_b32 s4, v37
	v_mov_b32_e32 v0, 0
	v_mov_b32_e32 v1, 0
	v_cmp_eq_u32_e64 s4, s4, v37
	s_waitcnt lgkmcnt(0)
	v_mov_b32_e32 v14, s15
	v_mov_b32_e32 v15, s14
	;; [unrolled: 1-line block ×8, first 2 shown]
	buffer_store_dword v14, off, s[0:3], s33 offset:12
	buffer_store_dword v15, off, s[0:3], s33 offset:8
	;; [unrolled: 1-line block ×3, first 2 shown]
	buffer_store_dword v17, off, s[0:3], s33
	buffer_store_dword v18, off, s[0:3], s33 offset:28
	buffer_store_dword v19, off, s[0:3], s33 offset:24
	buffer_store_dword v20, off, s[0:3], s33 offset:20
	buffer_store_dword v21, off, s[0:3], s33 offset:16
	s_waitcnt vmcnt(0)
	buffer_store_dword v13, off, s[0:3], s33 offset:43
	buffer_store_dword v12, off, s[0:3], s33 offset:39
	;; [unrolled: 1-line block ×4, first 2 shown]
	s_and_saveexec_b32 s5, s4
	s_cbranch_execz .LBB10_6
; %bb.1:
	global_load_dwordx2 v[12:13], v9, s[6:7] offset:24 glc dlc
	s_waitcnt vmcnt(0)
	buffer_gl1_inv
	buffer_gl0_inv
	s_clause 0x1
	global_load_dwordx2 v[0:1], v9, s[6:7] offset:40
	global_load_dwordx2 v[10:11], v9, s[6:7]
	s_mov_b32 s10, exec_lo
	s_waitcnt vmcnt(1)
	v_and_b32_e32 v1, v1, v13
	v_and_b32_e32 v0, v0, v12
	v_mul_lo_u32 v1, v1, 24
	v_mul_hi_u32 v14, v0, 24
	v_mul_lo_u32 v0, v0, 24
	v_add_nc_u32_e32 v1, v14, v1
	s_waitcnt vmcnt(0)
	v_add_co_u32 v0, vcc_lo, v10, v0
	v_add_co_ci_u32_e64 v1, null, v11, v1, vcc_lo
	global_load_dwordx2 v[10:11], v[0:1], off glc dlc
	s_waitcnt vmcnt(0)
	global_atomic_cmpswap_x2 v[0:1], v9, v[10:13], s[6:7] offset:24 glc
	s_waitcnt vmcnt(0)
	buffer_gl1_inv
	buffer_gl0_inv
	v_cmpx_ne_u64_e64 v[0:1], v[12:13]
	s_cbranch_execz .LBB10_5
; %bb.2:
	v_mov_b32_e32 v10, 0
	s_mov_b32 s11, 0
	.p2align	6
.LBB10_3:                               ; =>This Inner Loop Header: Depth=1
	s_sleep 1
	s_clause 0x1
	global_load_dwordx2 v[11:12], v10, s[6:7] offset:40
	global_load_dwordx2 v[15:16], v10, s[6:7]
	v_mov_b32_e32 v14, v1
	v_mov_b32_e32 v13, v0
	s_waitcnt vmcnt(1)
	v_and_b32_e32 v0, v11, v13
	v_and_b32_e32 v11, v12, v14
	s_waitcnt vmcnt(0)
	v_mad_u64_u32 v[0:1], null, v0, 24, v[15:16]
	v_mad_u64_u32 v[11:12], null, v11, 24, v[1:2]
	v_mov_b32_e32 v1, v11
	global_load_dwordx2 v[11:12], v[0:1], off glc dlc
	s_waitcnt vmcnt(0)
	global_atomic_cmpswap_x2 v[0:1], v10, v[11:14], s[6:7] offset:24 glc
	s_waitcnt vmcnt(0)
	buffer_gl1_inv
	buffer_gl0_inv
	v_cmp_eq_u64_e32 vcc_lo, v[0:1], v[13:14]
	s_or_b32 s11, vcc_lo, s11
	s_andn2_b32 exec_lo, exec_lo, s11
	s_cbranch_execnz .LBB10_3
; %bb.4:
	s_or_b32 exec_lo, exec_lo, s11
.LBB10_5:
	s_or_b32 exec_lo, exec_lo, s10
.LBB10_6:
	s_or_b32 exec_lo, exec_lo, s5
	s_clause 0x1
	global_load_dwordx2 v[13:14], v9, s[6:7] offset:40
	global_load_dwordx4 v[9:12], v9, s[6:7]
	v_readfirstlane_b32 s11, v1
	v_readfirstlane_b32 s10, v0
	s_mov_b32 s5, exec_lo
	s_waitcnt vmcnt(1)
	v_readfirstlane_b32 s12, v13
	v_readfirstlane_b32 s13, v14
	s_and_b64 s[12:13], s[12:13], s[10:11]
	s_mul_i32 s14, s13, 24
	s_mul_hi_u32 s15, s12, 24
	s_mul_i32 s16, s12, 24
	s_add_i32 s15, s15, s14
	s_waitcnt vmcnt(0)
	v_add_co_u32 v0, vcc_lo, v9, s16
	v_add_co_ci_u32_e64 v1, null, s15, v10, vcc_lo
	s_and_saveexec_b32 s14, s4
	s_cbranch_execz .LBB10_8
; %bb.7:
	v_mov_b32_e32 v13, s5
	v_mov_b32_e32 v14, 0
	;; [unrolled: 1-line block ×4, first 2 shown]
	global_store_dwordx4 v[0:1], v[13:16], off offset:8
.LBB10_8:
	s_or_b32 exec_lo, exec_lo, s14
	s_lshl_b64 s[12:13], s[12:13], 12
	v_lshlrev_b32_e32 v38, 6, v37
	v_add_co_u32 v15, vcc_lo, v11, s12
	v_add_co_ci_u32_e64 v16, null, s13, v12, vcc_lo
	v_mov_b32_e32 v12, 0
	s_mov_b32 s12, 0
	v_readfirstlane_b32 s16, v15
	s_mov_b32 s15, s12
	v_add_co_u32 v15, vcc_lo, v15, v38
	s_mov_b32 s13, s12
	s_mov_b32 s14, s12
	v_mov_b32_e32 v11, 33
	v_mov_b32_e32 v13, 1
	;; [unrolled: 1-line block ×3, first 2 shown]
	v_readfirstlane_b32 s17, v16
	v_mov_b32_e32 v20, s15
	v_add_co_ci_u32_e64 v16, null, 0, v16, vcc_lo
	v_mov_b32_e32 v19, s14
	v_mov_b32_e32 v18, s13
	;; [unrolled: 1-line block ×3, first 2 shown]
	global_store_dwordx4 v38, v[11:14], s[16:17]
	global_store_dwordx4 v38, v[17:20], s[16:17] offset:16
	global_store_dwordx4 v38, v[17:20], s[16:17] offset:32
	;; [unrolled: 1-line block ×3, first 2 shown]
	s_and_saveexec_b32 s5, s4
	s_cbranch_execz .LBB10_16
; %bb.9:
	s_clause 0x1
	global_load_dwordx2 v[19:20], v12, s[6:7] offset:32 glc dlc
	global_load_dwordx2 v[13:14], v12, s[6:7] offset:40
	v_mov_b32_e32 v17, s10
	v_mov_b32_e32 v18, s11
	s_mov_b32 s12, exec_lo
	s_waitcnt vmcnt(0)
	v_and_b32_e32 v11, s11, v14
	v_and_b32_e32 v13, s10, v13
	v_mul_lo_u32 v11, v11, 24
	v_mul_hi_u32 v14, v13, 24
	v_mul_lo_u32 v13, v13, 24
	v_add_nc_u32_e32 v11, v14, v11
	v_add_co_u32 v13, vcc_lo, v9, v13
	v_add_co_ci_u32_e64 v14, null, v10, v11, vcc_lo
	global_store_dwordx2 v[13:14], v[19:20], off
	s_waitcnt_vscnt null, 0x0
	global_atomic_cmpswap_x2 v[11:12], v12, v[17:20], s[6:7] offset:32 glc
	s_waitcnt vmcnt(0)
	v_cmpx_ne_u64_e64 v[11:12], v[19:20]
	s_cbranch_execz .LBB10_12
; %bb.10:
	v_mov_b32_e32 v17, 0
	s_mov_b32 s13, 0
.LBB10_11:                              ; =>This Inner Loop Header: Depth=1
	v_mov_b32_e32 v9, s10
	v_mov_b32_e32 v10, s11
	s_sleep 1
	global_store_dwordx2 v[13:14], v[11:12], off
	s_waitcnt_vscnt null, 0x0
	global_atomic_cmpswap_x2 v[9:10], v17, v[9:12], s[6:7] offset:32 glc
	s_waitcnt vmcnt(0)
	v_cmp_eq_u64_e32 vcc_lo, v[9:10], v[11:12]
	v_mov_b32_e32 v12, v10
	v_mov_b32_e32 v11, v9
	s_or_b32 s13, vcc_lo, s13
	s_andn2_b32 exec_lo, exec_lo, s13
	s_cbranch_execnz .LBB10_11
.LBB10_12:
	s_or_b32 exec_lo, exec_lo, s12
	v_mov_b32_e32 v12, 0
	s_mov_b32 s13, exec_lo
	s_mov_b32 s12, exec_lo
	v_mbcnt_lo_u32_b32 v11, s13, 0
	global_load_dwordx2 v[9:10], v12, s[6:7] offset:16
	v_cmpx_eq_u32_e32 0, v11
	s_cbranch_execz .LBB10_14
; %bb.13:
	s_bcnt1_i32_b32 s13, s13
	v_mov_b32_e32 v11, s13
	s_waitcnt vmcnt(0)
	global_atomic_add_x2 v[9:10], v[11:12], off offset:8
.LBB10_14:
	s_or_b32 exec_lo, exec_lo, s12
	s_waitcnt vmcnt(0)
	global_load_dwordx2 v[11:12], v[9:10], off offset:16
	s_waitcnt vmcnt(0)
	v_cmp_eq_u64_e32 vcc_lo, 0, v[11:12]
	s_cbranch_vccnz .LBB10_16
; %bb.15:
	global_load_dword v9, v[9:10], off offset:24
	v_mov_b32_e32 v10, 0
	s_waitcnt vmcnt(0)
	v_readfirstlane_b32 s12, v9
	s_waitcnt_vscnt null, 0x0
	global_store_dwordx2 v[11:12], v[9:10], off
	s_and_b32 m0, s12, 0x7fffff
	s_sendmsg sendmsg(MSG_INTERRUPT)
.LBB10_16:
	s_or_b32 exec_lo, exec_lo, s5
	s_branch .LBB10_20
	.p2align	6
.LBB10_17:                              ;   in Loop: Header=BB10_20 Depth=1
	s_or_b32 exec_lo, exec_lo, s5
	v_readfirstlane_b32 s5, v9
	s_cmp_eq_u32 s5, 0
	s_cbranch_scc1 .LBB10_19
; %bb.18:                               ;   in Loop: Header=BB10_20 Depth=1
	s_sleep 1
	s_cbranch_execnz .LBB10_20
	s_branch .LBB10_22
	.p2align	6
.LBB10_19:
	s_branch .LBB10_22
.LBB10_20:                              ; =>This Inner Loop Header: Depth=1
	v_mov_b32_e32 v9, 1
	s_and_saveexec_b32 s5, s4
	s_cbranch_execz .LBB10_17
; %bb.21:                               ;   in Loop: Header=BB10_20 Depth=1
	global_load_dword v9, v[0:1], off offset:20 glc dlc
	s_waitcnt vmcnt(0)
	buffer_gl1_inv
	buffer_gl0_inv
	v_and_b32_e32 v9, 1, v9
	s_branch .LBB10_17
.LBB10_22:
	global_load_dwordx2 v[13:14], v[15:16], off
	s_and_saveexec_b32 s12, s4
	s_cbranch_execz .LBB10_26
; %bb.23:
	v_mov_b32_e32 v15, 0
	s_clause 0x2
	global_load_dwordx2 v[0:1], v15, s[6:7] offset:40
	global_load_dwordx2 v[18:19], v15, s[6:7] offset:24 glc dlc
	global_load_dwordx2 v[9:10], v15, s[6:7]
	s_waitcnt vmcnt(2)
	v_readfirstlane_b32 s14, v0
	v_readfirstlane_b32 s15, v1
	s_add_u32 s13, s14, 1
	s_addc_u32 s16, s15, 0
	s_add_u32 s4, s13, s10
	s_addc_u32 s5, s16, s11
	s_cmp_eq_u64 s[4:5], 0
	s_cselect_b32 s5, s16, s5
	s_cselect_b32 s4, s13, s4
	v_mov_b32_e32 v17, s5
	s_and_b64 s[10:11], s[4:5], s[14:15]
	v_mov_b32_e32 v16, s4
	s_mul_i32 s11, s11, 24
	s_mul_hi_u32 s13, s10, 24
	s_mul_i32 s10, s10, 24
	s_add_i32 s13, s13, s11
	s_waitcnt vmcnt(0)
	v_add_co_u32 v0, vcc_lo, v9, s10
	v_add_co_ci_u32_e64 v1, null, s13, v10, vcc_lo
	global_store_dwordx2 v[0:1], v[18:19], off
	s_waitcnt_vscnt null, 0x0
	global_atomic_cmpswap_x2 v[11:12], v15, v[16:19], s[6:7] offset:24 glc
	s_waitcnt vmcnt(0)
	v_cmp_ne_u64_e32 vcc_lo, v[11:12], v[18:19]
	s_and_b32 exec_lo, exec_lo, vcc_lo
	s_cbranch_execz .LBB10_26
; %bb.24:
	s_mov_b32 s10, 0
.LBB10_25:                              ; =>This Inner Loop Header: Depth=1
	v_mov_b32_e32 v9, s4
	v_mov_b32_e32 v10, s5
	s_sleep 1
	global_store_dwordx2 v[0:1], v[11:12], off
	s_waitcnt_vscnt null, 0x0
	global_atomic_cmpswap_x2 v[9:10], v15, v[9:12], s[6:7] offset:24 glc
	s_waitcnt vmcnt(0)
	v_cmp_eq_u64_e32 vcc_lo, v[9:10], v[11:12]
	v_mov_b32_e32 v12, v10
	v_mov_b32_e32 v11, v9
	s_or_b32 s10, vcc_lo, s10
	s_andn2_b32 exec_lo, exec_lo, s10
	s_cbranch_execnz .LBB10_25
.LBB10_26:
	s_or_b32 exec_lo, exec_lo, s12
	s_lshr_b32 s5, s33, 5
	s_mov_b32 s4, 0
.LBB10_27:                              ; =>This Inner Loop Header: Depth=1
	v_mov_b32_e32 v0, s5
	s_add_i32 s5, s5, 1
	buffer_load_ubyte v0, v0, s[0:3], 0 offen
	s_waitcnt vmcnt(0)
	v_cmp_eq_u16_e32 vcc_lo, 0, v0
	v_mov_b32_e32 v0, s5
	s_or_b32 s4, vcc_lo, s4
	s_andn2_b32 exec_lo, exec_lo, s4
	s_cbranch_execnz .LBB10_27
; %bb.28:
	s_or_b32 exec_lo, exec_lo, s4
	s_lshr_b32 s4, s33, 5
	s_cmp_lg_u32 s4, -1
	s_cbranch_scc0 .LBB10_113
; %bb.29:
	v_lshrrev_b32_e64 v1, 5, s33
	v_and_b32_e32 v39, 2, v13
	v_mov_b32_e32 v16, 0
	v_and_b32_e32 v9, -3, v13
	v_mov_b32_e32 v10, v14
	v_subrev_nc_u32_e32 v0, v1, v0
	v_lshrrev_b32_e64 v48, 5, s33
	v_mov_b32_e32 v17, 2
	v_mov_b32_e32 v18, 1
	s_mov_b32 s15, 0
	v_ashrrev_i32_e32 v1, 31, v0
	s_mov_b32 s14, 0
	s_branch .LBB10_31
.LBB10_30:                              ;   in Loop: Header=BB10_31 Depth=1
	s_or_b32 exec_lo, exec_lo, s12
	v_sub_co_u32 v0, vcc_lo, v0, v49
	v_sub_co_ci_u32_e64 v1, null, v1, v33, vcc_lo
	v_add_nc_u32_e32 v48, v48, v49
	v_cmp_eq_u64_e32 vcc_lo, 0, v[0:1]
	s_or_b32 s14, vcc_lo, s14
	s_andn2_b32 exec_lo, exec_lo, s14
	s_cbranch_execz .LBB10_114
.LBB10_31:                              ; =>This Loop Header: Depth=1
                                        ;     Child Loop BB10_34 Depth 2
                                        ;     Child Loop BB10_42 Depth 2
	;; [unrolled: 1-line block ×11, first 2 shown]
	v_cmp_gt_u64_e32 vcc_lo, 56, v[0:1]
	v_add_nc_u32_e32 v21, 8, v48
	s_mov_b32 s5, exec_lo
	v_cndmask_b32_e32 v49, 56, v0, vcc_lo
	v_cmpx_gt_u64_e32 8, v[0:1]
	s_xor_b32 s5, exec_lo, s5
	s_cbranch_execz .LBB10_37
; %bb.32:                               ;   in Loop: Header=BB10_31 Depth=1
	v_mov_b32_e32 v11, 0
	v_mov_b32_e32 v12, 0
	s_mov_b32 s12, exec_lo
	v_cmpx_ne_u64_e32 0, v[0:1]
	s_cbranch_execz .LBB10_36
; %bb.33:                               ;   in Loop: Header=BB10_31 Depth=1
	v_mov_b32_e32 v11, 0
	v_mov_b32_e32 v12, 0
	s_mov_b64 s[10:11], 0
	s_mov_b32 s13, 0
	s_mov_b32 s16, 0
	.p2align	6
.LBB10_34:                              ;   Parent Loop BB10_31 Depth=1
                                        ; =>  This Inner Loop Header: Depth=2
	v_add_nc_u32_e32 v15, s16, v48
	v_mov_b32_e32 v20, s15
	s_add_i32 s16, s16, 1
	v_cmp_eq_u32_e64 s4, s16, v49
	buffer_load_ubyte v15, v15, s[0:3], 0 offen
	s_waitcnt vmcnt(0)
	v_and_b32_e32 v19, 0xffff, v15
	v_lshlrev_b64 v[19:20], s10, v[19:20]
	s_add_u32 s10, s10, 8
	s_addc_u32 s11, s11, 0
	s_or_b32 s13, s4, s13
	v_or_b32_e32 v12, v20, v12
	v_or_b32_e32 v11, v19, v11
	s_andn2_b32 exec_lo, exec_lo, s13
	s_cbranch_execnz .LBB10_34
; %bb.35:                               ;   in Loop: Header=BB10_31 Depth=1
	s_or_b32 exec_lo, exec_lo, s13
.LBB10_36:                              ;   in Loop: Header=BB10_31 Depth=1
	s_or_b32 exec_lo, exec_lo, s12
	v_mov_b32_e32 v21, v48
.LBB10_37:                              ;   in Loop: Header=BB10_31 Depth=1
	s_or_saveexec_b32 s4, s5
	v_mov_b32_e32 v22, 0
	s_xor_b32 exec_lo, exec_lo, s4
	s_cbranch_execz .LBB10_39
; %bb.38:                               ;   in Loop: Header=BB10_31 Depth=1
	s_clause 0x1
	buffer_load_dword v11, v48, s[0:3], 0 offen
	buffer_load_dword v12, v48, s[0:3], 0 offen offset:4
	v_add_nc_u32_e32 v22, -8, v49
.LBB10_39:                              ;   in Loop: Header=BB10_31 Depth=1
	s_or_b32 exec_lo, exec_lo, s4
	v_add_nc_u32_e32 v15, 8, v21
	s_mov_b32 s5, exec_lo
                                        ; implicit-def: $vgpr19_vgpr20
	v_cmpx_gt_u32_e32 8, v22
	s_xor_b32 s5, exec_lo, s5
	s_cbranch_execz .LBB10_45
; %bb.40:                               ;   in Loop: Header=BB10_31 Depth=1
	v_mov_b32_e32 v19, 0
	v_mov_b32_e32 v20, 0
	s_mov_b32 s12, exec_lo
	v_cmpx_ne_u32_e32 0, v22
	s_cbranch_execz .LBB10_44
; %bb.41:                               ;   in Loop: Header=BB10_31 Depth=1
	v_mov_b32_e32 v19, 0
	v_mov_b32_e32 v20, 0
	s_mov_b64 s[10:11], 0
	s_mov_b32 s13, 0
	s_mov_b32 s16, 0
	.p2align	6
.LBB10_42:                              ;   Parent Loop BB10_31 Depth=1
                                        ; =>  This Inner Loop Header: Depth=2
	v_add_nc_u32_e32 v15, s16, v21
	v_mov_b32_e32 v24, s15
	s_add_i32 s16, s16, 1
	v_cmp_eq_u32_e64 s4, s16, v22
	buffer_load_ubyte v15, v15, s[0:3], 0 offen
	s_waitcnt vmcnt(0)
	v_and_b32_e32 v23, 0xffff, v15
	v_lshlrev_b64 v[23:24], s10, v[23:24]
	s_add_u32 s10, s10, 8
	s_addc_u32 s11, s11, 0
	s_or_b32 s13, s4, s13
	v_or_b32_e32 v20, v24, v20
	v_or_b32_e32 v19, v23, v19
	s_andn2_b32 exec_lo, exec_lo, s13
	s_cbranch_execnz .LBB10_42
; %bb.43:                               ;   in Loop: Header=BB10_31 Depth=1
	s_or_b32 exec_lo, exec_lo, s13
.LBB10_44:                              ;   in Loop: Header=BB10_31 Depth=1
	s_or_b32 exec_lo, exec_lo, s12
	v_mov_b32_e32 v15, v21
                                        ; implicit-def: $vgpr22
.LBB10_45:                              ;   in Loop: Header=BB10_31 Depth=1
	s_or_saveexec_b32 s4, s5
	v_mov_b32_e32 v23, 0
	s_xor_b32 exec_lo, exec_lo, s4
	s_cbranch_execz .LBB10_47
; %bb.46:                               ;   in Loop: Header=BB10_31 Depth=1
	s_clause 0x1
	buffer_load_dword v19, v21, s[0:3], 0 offen
	buffer_load_dword v20, v21, s[0:3], 0 offen offset:4
	v_add_nc_u32_e32 v23, -8, v22
.LBB10_47:                              ;   in Loop: Header=BB10_31 Depth=1
	s_or_b32 exec_lo, exec_lo, s4
	v_add_nc_u32_e32 v25, 8, v15
	s_mov_b32 s5, exec_lo
	v_cmpx_gt_u32_e32 8, v23
	s_xor_b32 s5, exec_lo, s5
	s_cbranch_execz .LBB10_53
; %bb.48:                               ;   in Loop: Header=BB10_31 Depth=1
	v_mov_b32_e32 v21, 0
	v_mov_b32_e32 v22, 0
	s_mov_b32 s12, exec_lo
	v_cmpx_ne_u32_e32 0, v23
	s_cbranch_execz .LBB10_52
; %bb.49:                               ;   in Loop: Header=BB10_31 Depth=1
	v_mov_b32_e32 v21, 0
	v_mov_b32_e32 v22, 0
	s_mov_b64 s[10:11], 0
	s_mov_b32 s13, 0
	s_mov_b32 s16, 0
	.p2align	6
.LBB10_50:                              ;   Parent Loop BB10_31 Depth=1
                                        ; =>  This Inner Loop Header: Depth=2
	v_add_nc_u32_e32 v24, s16, v15
	v_mov_b32_e32 v25, s15
	s_add_i32 s16, s16, 1
	v_cmp_eq_u32_e64 s4, s16, v23
	buffer_load_ubyte v24, v24, s[0:3], 0 offen
	s_waitcnt vmcnt(0)
	v_and_b32_e32 v24, 0xffff, v24
	v_lshlrev_b64 v[24:25], s10, v[24:25]
	s_add_u32 s10, s10, 8
	s_addc_u32 s11, s11, 0
	s_or_b32 s13, s4, s13
	v_or_b32_e32 v22, v25, v22
	v_or_b32_e32 v21, v24, v21
	s_andn2_b32 exec_lo, exec_lo, s13
	s_cbranch_execnz .LBB10_50
; %bb.51:                               ;   in Loop: Header=BB10_31 Depth=1
	s_or_b32 exec_lo, exec_lo, s13
.LBB10_52:                              ;   in Loop: Header=BB10_31 Depth=1
	s_or_b32 exec_lo, exec_lo, s12
	v_mov_b32_e32 v25, v15
                                        ; implicit-def: $vgpr23
.LBB10_53:                              ;   in Loop: Header=BB10_31 Depth=1
	s_or_saveexec_b32 s4, s5
	v_mov_b32_e32 v26, 0
	s_xor_b32 exec_lo, exec_lo, s4
	s_cbranch_execz .LBB10_55
; %bb.54:                               ;   in Loop: Header=BB10_31 Depth=1
	s_clause 0x1
	buffer_load_dword v21, v15, s[0:3], 0 offen
	buffer_load_dword v22, v15, s[0:3], 0 offen offset:4
	v_add_nc_u32_e32 v26, -8, v23
.LBB10_55:                              ;   in Loop: Header=BB10_31 Depth=1
	s_or_b32 exec_lo, exec_lo, s4
	v_add_nc_u32_e32 v15, 8, v25
	s_mov_b32 s5, exec_lo
                                        ; implicit-def: $vgpr23_vgpr24
	v_cmpx_gt_u32_e32 8, v26
	s_xor_b32 s5, exec_lo, s5
	s_cbranch_execz .LBB10_61
; %bb.56:                               ;   in Loop: Header=BB10_31 Depth=1
	v_mov_b32_e32 v23, 0
	v_mov_b32_e32 v24, 0
	s_mov_b32 s12, exec_lo
	v_cmpx_ne_u32_e32 0, v26
	s_cbranch_execz .LBB10_60
; %bb.57:                               ;   in Loop: Header=BB10_31 Depth=1
	v_mov_b32_e32 v23, 0
	v_mov_b32_e32 v24, 0
	s_mov_b64 s[10:11], 0
	s_mov_b32 s13, 0
	s_mov_b32 s16, 0
	.p2align	6
.LBB10_58:                              ;   Parent Loop BB10_31 Depth=1
                                        ; =>  This Inner Loop Header: Depth=2
	v_add_nc_u32_e32 v15, s16, v25
	v_mov_b32_e32 v28, s15
	s_add_i32 s16, s16, 1
	v_cmp_eq_u32_e64 s4, s16, v26
	buffer_load_ubyte v15, v15, s[0:3], 0 offen
	s_waitcnt vmcnt(0)
	v_and_b32_e32 v27, 0xffff, v15
	v_lshlrev_b64 v[27:28], s10, v[27:28]
	s_add_u32 s10, s10, 8
	s_addc_u32 s11, s11, 0
	s_or_b32 s13, s4, s13
	v_or_b32_e32 v24, v28, v24
	v_or_b32_e32 v23, v27, v23
	s_andn2_b32 exec_lo, exec_lo, s13
	s_cbranch_execnz .LBB10_58
; %bb.59:                               ;   in Loop: Header=BB10_31 Depth=1
	s_or_b32 exec_lo, exec_lo, s13
.LBB10_60:                              ;   in Loop: Header=BB10_31 Depth=1
	s_or_b32 exec_lo, exec_lo, s12
	v_mov_b32_e32 v15, v25
                                        ; implicit-def: $vgpr26
.LBB10_61:                              ;   in Loop: Header=BB10_31 Depth=1
	s_or_saveexec_b32 s4, s5
	v_mov_b32_e32 v27, 0
	s_xor_b32 exec_lo, exec_lo, s4
	s_cbranch_execz .LBB10_63
; %bb.62:                               ;   in Loop: Header=BB10_31 Depth=1
	s_clause 0x1
	buffer_load_dword v23, v25, s[0:3], 0 offen
	buffer_load_dword v24, v25, s[0:3], 0 offen offset:4
	v_add_nc_u32_e32 v27, -8, v26
.LBB10_63:                              ;   in Loop: Header=BB10_31 Depth=1
	s_or_b32 exec_lo, exec_lo, s4
	v_add_nc_u32_e32 v29, 8, v15
	s_mov_b32 s5, exec_lo
	v_cmpx_gt_u32_e32 8, v27
	s_xor_b32 s5, exec_lo, s5
	s_cbranch_execz .LBB10_69
; %bb.64:                               ;   in Loop: Header=BB10_31 Depth=1
	v_mov_b32_e32 v25, 0
	v_mov_b32_e32 v26, 0
	s_mov_b32 s12, exec_lo
	v_cmpx_ne_u32_e32 0, v27
	s_cbranch_execz .LBB10_68
; %bb.65:                               ;   in Loop: Header=BB10_31 Depth=1
	v_mov_b32_e32 v25, 0
	v_mov_b32_e32 v26, 0
	s_mov_b64 s[10:11], 0
	s_mov_b32 s13, 0
	s_mov_b32 s16, 0
	.p2align	6
.LBB10_66:                              ;   Parent Loop BB10_31 Depth=1
                                        ; =>  This Inner Loop Header: Depth=2
	v_add_nc_u32_e32 v28, s16, v15
	v_mov_b32_e32 v29, s15
	s_add_i32 s16, s16, 1
	v_cmp_eq_u32_e64 s4, s16, v27
	buffer_load_ubyte v28, v28, s[0:3], 0 offen
	s_waitcnt vmcnt(0)
	v_and_b32_e32 v28, 0xffff, v28
	v_lshlrev_b64 v[28:29], s10, v[28:29]
	s_add_u32 s10, s10, 8
	s_addc_u32 s11, s11, 0
	s_or_b32 s13, s4, s13
	v_or_b32_e32 v26, v29, v26
	v_or_b32_e32 v25, v28, v25
	s_andn2_b32 exec_lo, exec_lo, s13
	s_cbranch_execnz .LBB10_66
; %bb.67:                               ;   in Loop: Header=BB10_31 Depth=1
	s_or_b32 exec_lo, exec_lo, s13
.LBB10_68:                              ;   in Loop: Header=BB10_31 Depth=1
	s_or_b32 exec_lo, exec_lo, s12
	v_mov_b32_e32 v29, v15
                                        ; implicit-def: $vgpr27
.LBB10_69:                              ;   in Loop: Header=BB10_31 Depth=1
	s_or_saveexec_b32 s4, s5
	v_mov_b32_e32 v30, 0
	s_xor_b32 exec_lo, exec_lo, s4
	s_cbranch_execz .LBB10_71
; %bb.70:                               ;   in Loop: Header=BB10_31 Depth=1
	s_clause 0x1
	buffer_load_dword v25, v15, s[0:3], 0 offen
	buffer_load_dword v26, v15, s[0:3], 0 offen offset:4
	v_add_nc_u32_e32 v30, -8, v27
.LBB10_71:                              ;   in Loop: Header=BB10_31 Depth=1
	s_or_b32 exec_lo, exec_lo, s4
	v_add_nc_u32_e32 v15, 8, v29
	s_mov_b32 s5, exec_lo
                                        ; implicit-def: $vgpr27_vgpr28
	v_cmpx_gt_u32_e32 8, v30
	s_xor_b32 s5, exec_lo, s5
	s_cbranch_execz .LBB10_77
; %bb.72:                               ;   in Loop: Header=BB10_31 Depth=1
	v_mov_b32_e32 v27, 0
	v_mov_b32_e32 v28, 0
	s_mov_b32 s12, exec_lo
	v_cmpx_ne_u32_e32 0, v30
	s_cbranch_execz .LBB10_76
; %bb.73:                               ;   in Loop: Header=BB10_31 Depth=1
	v_mov_b32_e32 v27, 0
	v_mov_b32_e32 v28, 0
	s_mov_b64 s[10:11], 0
	s_mov_b32 s13, 0
	s_mov_b32 s16, 0
	.p2align	6
.LBB10_74:                              ;   Parent Loop BB10_31 Depth=1
                                        ; =>  This Inner Loop Header: Depth=2
	v_add_nc_u32_e32 v15, s16, v29
	v_mov_b32_e32 v32, s15
	s_add_i32 s16, s16, 1
	v_cmp_eq_u32_e64 s4, s16, v30
	buffer_load_ubyte v15, v15, s[0:3], 0 offen
	s_waitcnt vmcnt(0)
	v_and_b32_e32 v31, 0xffff, v15
	v_lshlrev_b64 v[31:32], s10, v[31:32]
	s_add_u32 s10, s10, 8
	s_addc_u32 s11, s11, 0
	s_or_b32 s13, s4, s13
	v_or_b32_e32 v28, v32, v28
	v_or_b32_e32 v27, v31, v27
	s_andn2_b32 exec_lo, exec_lo, s13
	s_cbranch_execnz .LBB10_74
; %bb.75:                               ;   in Loop: Header=BB10_31 Depth=1
	s_or_b32 exec_lo, exec_lo, s13
.LBB10_76:                              ;   in Loop: Header=BB10_31 Depth=1
	s_or_b32 exec_lo, exec_lo, s12
	v_mov_b32_e32 v15, v29
                                        ; implicit-def: $vgpr30
.LBB10_77:                              ;   in Loop: Header=BB10_31 Depth=1
	s_or_saveexec_b32 s4, s5
	v_mov_b32_e32 v31, 0
	s_xor_b32 exec_lo, exec_lo, s4
	s_cbranch_execz .LBB10_79
; %bb.78:                               ;   in Loop: Header=BB10_31 Depth=1
	s_clause 0x1
	buffer_load_dword v27, v29, s[0:3], 0 offen
	buffer_load_dword v28, v29, s[0:3], 0 offen offset:4
	v_add_nc_u32_e32 v31, -8, v30
.LBB10_79:                              ;   in Loop: Header=BB10_31 Depth=1
	s_or_b32 exec_lo, exec_lo, s4
	s_mov_b32 s5, exec_lo
	v_cmpx_gt_u32_e32 8, v31
	s_xor_b32 s5, exec_lo, s5
	s_cbranch_execz .LBB10_85
; %bb.80:                               ;   in Loop: Header=BB10_31 Depth=1
	v_mov_b32_e32 v29, 0
	v_mov_b32_e32 v30, 0
	s_mov_b32 s12, exec_lo
	v_cmpx_ne_u32_e32 0, v31
	s_cbranch_execz .LBB10_84
; %bb.81:                               ;   in Loop: Header=BB10_31 Depth=1
	v_mov_b32_e32 v29, 0
	v_mov_b32_e32 v30, 0
	s_mov_b64 s[10:11], 0
	s_mov_b32 s13, 0
	.p2align	6
.LBB10_82:                              ;   Parent Loop BB10_31 Depth=1
                                        ; =>  This Inner Loop Header: Depth=2
	buffer_load_ubyte v32, v15, s[0:3], 0 offen
	v_mov_b32_e32 v33, s15
	v_add_nc_u32_e32 v31, -1, v31
	v_add_nc_u32_e32 v15, 1, v15
	v_cmp_eq_u32_e64 s4, 0, v31
	s_waitcnt vmcnt(0)
	v_and_b32_e32 v32, 0xffff, v32
	v_lshlrev_b64 v[32:33], s10, v[32:33]
	s_add_u32 s10, s10, 8
	s_addc_u32 s11, s11, 0
	s_or_b32 s13, s4, s13
	v_or_b32_e32 v30, v33, v30
	v_or_b32_e32 v29, v32, v29
	s_andn2_b32 exec_lo, exec_lo, s13
	s_cbranch_execnz .LBB10_82
; %bb.83:                               ;   in Loop: Header=BB10_31 Depth=1
	s_or_b32 exec_lo, exec_lo, s13
.LBB10_84:                              ;   in Loop: Header=BB10_31 Depth=1
	s_or_b32 exec_lo, exec_lo, s12
                                        ; implicit-def: $vgpr15
.LBB10_85:                              ;   in Loop: Header=BB10_31 Depth=1
	s_andn2_saveexec_b32 s4, s5
	s_cbranch_execz .LBB10_87
; %bb.86:                               ;   in Loop: Header=BB10_31 Depth=1
	s_clause 0x1
	buffer_load_dword v29, v15, s[0:3], 0 offen
	buffer_load_dword v30, v15, s[0:3], 0 offen offset:4
.LBB10_87:                              ;   in Loop: Header=BB10_31 Depth=1
	s_or_b32 exec_lo, exec_lo, s4
	v_readfirstlane_b32 s4, v37
	v_mov_b32_e32 v35, 0
	v_mov_b32_e32 v36, 0
	v_cmp_eq_u32_e64 s4, s4, v37
	s_and_saveexec_b32 s10, s4
	s_cbranch_execz .LBB10_93
; %bb.88:                               ;   in Loop: Header=BB10_31 Depth=1
	global_load_dwordx2 v[33:34], v16, s[6:7] offset:24 glc dlc
	s_waitcnt vmcnt(0)
	buffer_gl1_inv
	buffer_gl0_inv
	s_clause 0x1
	global_load_dwordx2 v[31:32], v16, s[6:7] offset:40
	global_load_dwordx2 v[35:36], v16, s[6:7]
	s_mov_b32 s11, exec_lo
	s_waitcnt vmcnt(1)
	v_and_b32_e32 v15, v32, v34
	v_and_b32_e32 v31, v31, v33
	v_mul_lo_u32 v15, v15, 24
	v_mul_hi_u32 v32, v31, 24
	v_mul_lo_u32 v31, v31, 24
	v_add_nc_u32_e32 v15, v32, v15
	s_waitcnt vmcnt(0)
	v_add_co_u32 v31, s5, v35, v31
	v_add_co_ci_u32_e64 v32, null, v36, v15, s5
	global_load_dwordx2 v[31:32], v[31:32], off glc dlc
	s_waitcnt vmcnt(0)
	global_atomic_cmpswap_x2 v[35:36], v16, v[31:34], s[6:7] offset:24 glc
	s_waitcnt vmcnt(0)
	buffer_gl1_inv
	buffer_gl0_inv
	v_cmpx_ne_u64_e64 v[35:36], v[33:34]
	s_cbranch_execz .LBB10_92
; %bb.89:                               ;   in Loop: Header=BB10_31 Depth=1
	s_mov_b32 s12, 0
	.p2align	6
.LBB10_90:                              ;   Parent Loop BB10_31 Depth=1
                                        ; =>  This Inner Loop Header: Depth=2
	s_sleep 1
	s_clause 0x1
	global_load_dwordx2 v[31:32], v16, s[6:7] offset:40
	global_load_dwordx2 v[50:51], v16, s[6:7]
	v_mov_b32_e32 v33, v35
	v_mov_b32_e32 v34, v36
	s_waitcnt vmcnt(1)
	v_and_b32_e32 v15, v31, v33
	v_and_b32_e32 v31, v32, v34
	s_waitcnt vmcnt(0)
	v_mad_u64_u32 v[35:36], null, v15, 24, v[50:51]
	v_mov_b32_e32 v15, v36
	v_mad_u64_u32 v[31:32], null, v31, 24, v[15:16]
	v_mov_b32_e32 v36, v31
	global_load_dwordx2 v[31:32], v[35:36], off glc dlc
	s_waitcnt vmcnt(0)
	global_atomic_cmpswap_x2 v[35:36], v16, v[31:34], s[6:7] offset:24 glc
	s_waitcnt vmcnt(0)
	buffer_gl1_inv
	buffer_gl0_inv
	v_cmp_eq_u64_e64 s5, v[35:36], v[33:34]
	s_or_b32 s12, s5, s12
	s_andn2_b32 exec_lo, exec_lo, s12
	s_cbranch_execnz .LBB10_90
; %bb.91:                               ;   in Loop: Header=BB10_31 Depth=1
	s_or_b32 exec_lo, exec_lo, s12
.LBB10_92:                              ;   in Loop: Header=BB10_31 Depth=1
	s_or_b32 exec_lo, exec_lo, s11
.LBB10_93:                              ;   in Loop: Header=BB10_31 Depth=1
	s_or_b32 exec_lo, exec_lo, s10
	s_clause 0x1
	global_load_dwordx2 v[50:51], v16, s[6:7] offset:40
	global_load_dwordx4 v[31:34], v16, s[6:7]
	v_readfirstlane_b32 s11, v36
	v_readfirstlane_b32 s10, v35
	s_mov_b32 s16, exec_lo
	s_waitcnt vmcnt(1)
	v_readfirstlane_b32 s12, v50
	v_readfirstlane_b32 s13, v51
	s_and_b64 s[12:13], s[12:13], s[10:11]
	s_mul_i32 s5, s13, 24
	s_mul_hi_u32 s17, s12, 24
	s_mul_i32 s18, s12, 24
	s_add_i32 s17, s17, s5
	s_waitcnt vmcnt(0)
	v_add_co_u32 v35, s5, v31, s18
	v_add_co_ci_u32_e64 v36, null, s17, v32, s5
	s_and_saveexec_b32 s5, s4
	s_cbranch_execz .LBB10_95
; %bb.94:                               ;   in Loop: Header=BB10_31 Depth=1
	v_mov_b32_e32 v15, s16
	global_store_dwordx4 v[35:36], v[15:18], off offset:8
.LBB10_95:                              ;   in Loop: Header=BB10_31 Depth=1
	s_or_b32 exec_lo, exec_lo, s5
	v_cmp_gt_u64_e64 s5, 57, v[0:1]
	v_and_b32_e32 v9, 0xffffff1f, v9
	s_lshl_b64 s[12:13], s[12:13], 12
	v_cndmask_b32_e64 v15, 0, v39, s5
	v_add_co_u32 v50, s5, v33, s12
	v_add_co_ci_u32_e64 v34, null, s13, v34, s5
	v_lshl_add_u32 v33, v49, 2, 28
	v_or_b32_e32 v9, v9, v15
	v_readfirstlane_b32 s12, v50
	v_readfirstlane_b32 s13, v34
	v_and_or_b32 v9, 0x1e0, v33, v9
	v_cndmask_b32_e32 v33, 0, v1, vcc_lo
	global_store_dwordx4 v38, v[19:22], s[12:13] offset:16
	global_store_dwordx4 v38, v[9:12], s[12:13]
	global_store_dwordx4 v38, v[23:26], s[12:13] offset:32
	global_store_dwordx4 v38, v[27:30], s[12:13] offset:48
	s_and_saveexec_b32 s5, s4
	s_cbranch_execz .LBB10_103
; %bb.96:                               ;   in Loop: Header=BB10_31 Depth=1
	s_clause 0x1
	global_load_dwordx2 v[23:24], v16, s[6:7] offset:32 glc dlc
	global_load_dwordx2 v[9:10], v16, s[6:7] offset:40
	v_mov_b32_e32 v21, s10
	v_mov_b32_e32 v22, s11
	s_waitcnt vmcnt(0)
	v_readfirstlane_b32 s12, v9
	v_readfirstlane_b32 s13, v10
	s_and_b64 s[12:13], s[12:13], s[10:11]
	s_mul_i32 s13, s13, 24
	s_mul_hi_u32 s16, s12, 24
	s_mul_i32 s12, s12, 24
	s_add_i32 s16, s16, s13
	v_add_co_u32 v19, vcc_lo, v31, s12
	v_add_co_ci_u32_e64 v20, null, s16, v32, vcc_lo
	s_mov_b32 s12, exec_lo
	global_store_dwordx2 v[19:20], v[23:24], off
	s_waitcnt_vscnt null, 0x0
	global_atomic_cmpswap_x2 v[11:12], v16, v[21:24], s[6:7] offset:32 glc
	s_waitcnt vmcnt(0)
	v_cmpx_ne_u64_e64 v[11:12], v[23:24]
	s_cbranch_execz .LBB10_99
; %bb.97:                               ;   in Loop: Header=BB10_31 Depth=1
	s_mov_b32 s13, 0
.LBB10_98:                              ;   Parent Loop BB10_31 Depth=1
                                        ; =>  This Inner Loop Header: Depth=2
	v_mov_b32_e32 v9, s10
	v_mov_b32_e32 v10, s11
	s_sleep 1
	global_store_dwordx2 v[19:20], v[11:12], off
	s_waitcnt_vscnt null, 0x0
	global_atomic_cmpswap_x2 v[9:10], v16, v[9:12], s[6:7] offset:32 glc
	s_waitcnt vmcnt(0)
	v_cmp_eq_u64_e32 vcc_lo, v[9:10], v[11:12]
	v_mov_b32_e32 v12, v10
	v_mov_b32_e32 v11, v9
	s_or_b32 s13, vcc_lo, s13
	s_andn2_b32 exec_lo, exec_lo, s13
	s_cbranch_execnz .LBB10_98
.LBB10_99:                              ;   in Loop: Header=BB10_31 Depth=1
	s_or_b32 exec_lo, exec_lo, s12
	global_load_dwordx2 v[9:10], v16, s[6:7] offset:16
	s_mov_b32 s13, exec_lo
	s_mov_b32 s12, exec_lo
	v_mbcnt_lo_u32_b32 v11, s13, 0
	v_cmpx_eq_u32_e32 0, v11
	s_cbranch_execz .LBB10_101
; %bb.100:                              ;   in Loop: Header=BB10_31 Depth=1
	s_bcnt1_i32_b32 s13, s13
	v_mov_b32_e32 v15, s13
	s_waitcnt vmcnt(0)
	global_atomic_add_x2 v[9:10], v[15:16], off offset:8
.LBB10_101:                             ;   in Loop: Header=BB10_31 Depth=1
	s_or_b32 exec_lo, exec_lo, s12
	s_waitcnt vmcnt(0)
	global_load_dwordx2 v[11:12], v[9:10], off offset:16
	s_waitcnt vmcnt(0)
	v_cmp_eq_u64_e32 vcc_lo, 0, v[11:12]
	s_cbranch_vccnz .LBB10_103
; %bb.102:                              ;   in Loop: Header=BB10_31 Depth=1
	global_load_dword v15, v[9:10], off offset:24
	s_waitcnt vmcnt(0)
	v_readfirstlane_b32 s12, v15
	s_waitcnt_vscnt null, 0x0
	global_store_dwordx2 v[11:12], v[15:16], off
	s_and_b32 m0, s12, 0x7fffff
	s_sendmsg sendmsg(MSG_INTERRUPT)
.LBB10_103:                             ;   in Loop: Header=BB10_31 Depth=1
	s_or_b32 exec_lo, exec_lo, s5
	v_add_co_u32 v9, vcc_lo, v50, v38
	v_add_co_ci_u32_e64 v10, null, 0, v34, vcc_lo
	s_branch .LBB10_107
	.p2align	6
.LBB10_104:                             ;   in Loop: Header=BB10_107 Depth=2
	s_or_b32 exec_lo, exec_lo, s5
	v_readfirstlane_b32 s5, v11
	s_cmp_eq_u32 s5, 0
	s_cbranch_scc1 .LBB10_106
; %bb.105:                              ;   in Loop: Header=BB10_107 Depth=2
	s_sleep 1
	s_cbranch_execnz .LBB10_107
	s_branch .LBB10_109
	.p2align	6
.LBB10_106:                             ;   in Loop: Header=BB10_31 Depth=1
	s_branch .LBB10_109
.LBB10_107:                             ;   Parent Loop BB10_31 Depth=1
                                        ; =>  This Inner Loop Header: Depth=2
	v_mov_b32_e32 v11, 1
	s_and_saveexec_b32 s5, s4
	s_cbranch_execz .LBB10_104
; %bb.108:                              ;   in Loop: Header=BB10_107 Depth=2
	global_load_dword v11, v[35:36], off offset:20 glc dlc
	s_waitcnt vmcnt(0)
	buffer_gl1_inv
	buffer_gl0_inv
	v_and_b32_e32 v11, 1, v11
	s_branch .LBB10_104
.LBB10_109:                             ;   in Loop: Header=BB10_31 Depth=1
	global_load_dwordx2 v[9:10], v[9:10], off
	s_and_saveexec_b32 s12, s4
	s_cbranch_execz .LBB10_30
; %bb.110:                              ;   in Loop: Header=BB10_31 Depth=1
	s_clause 0x2
	global_load_dwordx2 v[11:12], v16, s[6:7] offset:40
	global_load_dwordx2 v[23:24], v16, s[6:7] offset:24 glc dlc
	global_load_dwordx2 v[19:20], v16, s[6:7]
	s_waitcnt vmcnt(2)
	v_readfirstlane_b32 s16, v11
	v_readfirstlane_b32 s17, v12
	s_add_u32 s13, s16, 1
	s_addc_u32 s18, s17, 0
	s_add_u32 s4, s13, s10
	s_addc_u32 s5, s18, s11
	s_cmp_eq_u64 s[4:5], 0
	s_cselect_b32 s5, s18, s5
	s_cselect_b32 s4, s13, s4
	v_mov_b32_e32 v22, s5
	s_and_b64 s[10:11], s[4:5], s[16:17]
	v_mov_b32_e32 v21, s4
	s_mul_i32 s11, s11, 24
	s_mul_hi_u32 s13, s10, 24
	s_mul_i32 s10, s10, 24
	s_add_i32 s13, s13, s11
	s_waitcnt vmcnt(0)
	v_add_co_u32 v11, vcc_lo, v19, s10
	v_add_co_ci_u32_e64 v12, null, s13, v20, vcc_lo
	global_store_dwordx2 v[11:12], v[23:24], off
	s_waitcnt_vscnt null, 0x0
	global_atomic_cmpswap_x2 v[21:22], v16, v[21:24], s[6:7] offset:24 glc
	s_waitcnt vmcnt(0)
	v_cmp_ne_u64_e32 vcc_lo, v[21:22], v[23:24]
	s_and_b32 exec_lo, exec_lo, vcc_lo
	s_cbranch_execz .LBB10_30
; %bb.111:                              ;   in Loop: Header=BB10_31 Depth=1
	s_mov_b32 s10, 0
.LBB10_112:                             ;   Parent Loop BB10_31 Depth=1
                                        ; =>  This Inner Loop Header: Depth=2
	v_mov_b32_e32 v19, s4
	v_mov_b32_e32 v20, s5
	s_sleep 1
	global_store_dwordx2 v[11:12], v[21:22], off
	s_waitcnt_vscnt null, 0x0
	global_atomic_cmpswap_x2 v[19:20], v16, v[19:22], s[6:7] offset:24 glc
	s_waitcnt vmcnt(0)
	v_cmp_eq_u64_e32 vcc_lo, v[19:20], v[21:22]
	v_mov_b32_e32 v22, v20
	v_mov_b32_e32 v21, v19
	s_or_b32 s10, vcc_lo, s10
	s_andn2_b32 exec_lo, exec_lo, s10
	s_cbranch_execnz .LBB10_112
	s_branch .LBB10_30
.LBB10_113:
                                        ; implicit-def: $vgpr9_vgpr10
	s_cbranch_execnz .LBB10_115
	s_branch .LBB10_142
.LBB10_114:
	s_or_b32 exec_lo, exec_lo, s14
	s_branch .LBB10_142
.LBB10_115:
	v_readfirstlane_b32 s4, v37
	v_mov_b32_e32 v0, 0
	v_mov_b32_e32 v1, 0
	v_cmp_eq_u32_e64 s4, s4, v37
	s_and_saveexec_b32 s5, s4
	s_cbranch_execz .LBB10_121
; %bb.116:
	s_waitcnt vmcnt(0)
	v_mov_b32_e32 v9, 0
	s_mov_b32 s10, exec_lo
	global_load_dwordx2 v[17:18], v9, s[6:7] offset:24 glc dlc
	s_waitcnt vmcnt(0)
	buffer_gl1_inv
	buffer_gl0_inv
	s_clause 0x1
	global_load_dwordx2 v[0:1], v9, s[6:7] offset:40
	global_load_dwordx2 v[10:11], v9, s[6:7]
	s_waitcnt vmcnt(1)
	v_and_b32_e32 v1, v1, v18
	v_and_b32_e32 v0, v0, v17
	v_mul_lo_u32 v1, v1, 24
	v_mul_hi_u32 v12, v0, 24
	v_mul_lo_u32 v0, v0, 24
	v_add_nc_u32_e32 v1, v12, v1
	s_waitcnt vmcnt(0)
	v_add_co_u32 v0, vcc_lo, v10, v0
	v_add_co_ci_u32_e64 v1, null, v11, v1, vcc_lo
	global_load_dwordx2 v[15:16], v[0:1], off glc dlc
	s_waitcnt vmcnt(0)
	global_atomic_cmpswap_x2 v[0:1], v9, v[15:18], s[6:7] offset:24 glc
	s_waitcnt vmcnt(0)
	buffer_gl1_inv
	buffer_gl0_inv
	v_cmpx_ne_u64_e64 v[0:1], v[17:18]
	s_cbranch_execz .LBB10_120
; %bb.117:
	s_mov_b32 s11, 0
	.p2align	6
.LBB10_118:                             ; =>This Inner Loop Header: Depth=1
	s_sleep 1
	s_clause 0x1
	global_load_dwordx2 v[10:11], v9, s[6:7] offset:40
	global_load_dwordx2 v[15:16], v9, s[6:7]
	v_mov_b32_e32 v18, v1
	v_mov_b32_e32 v17, v0
	s_waitcnt vmcnt(1)
	v_and_b32_e32 v0, v10, v17
	v_and_b32_e32 v10, v11, v18
	s_waitcnt vmcnt(0)
	v_mad_u64_u32 v[0:1], null, v0, 24, v[15:16]
	v_mad_u64_u32 v[10:11], null, v10, 24, v[1:2]
	v_mov_b32_e32 v1, v10
	global_load_dwordx2 v[15:16], v[0:1], off glc dlc
	s_waitcnt vmcnt(0)
	global_atomic_cmpswap_x2 v[0:1], v9, v[15:18], s[6:7] offset:24 glc
	s_waitcnt vmcnt(0)
	buffer_gl1_inv
	buffer_gl0_inv
	v_cmp_eq_u64_e32 vcc_lo, v[0:1], v[17:18]
	s_or_b32 s11, vcc_lo, s11
	s_andn2_b32 exec_lo, exec_lo, s11
	s_cbranch_execnz .LBB10_118
; %bb.119:
	s_or_b32 exec_lo, exec_lo, s11
.LBB10_120:
	s_or_b32 exec_lo, exec_lo, s10
.LBB10_121:
	s_or_b32 exec_lo, exec_lo, s5
	v_mov_b32_e32 v15, 0
	v_readfirstlane_b32 s11, v1
	v_readfirstlane_b32 s10, v0
	s_mov_b32 s5, exec_lo
	s_clause 0x1
	global_load_dwordx2 v[16:17], v15, s[6:7] offset:40
	global_load_dwordx4 v[9:12], v15, s[6:7]
	s_waitcnt vmcnt(1)
	v_readfirstlane_b32 s12, v16
	v_readfirstlane_b32 s13, v17
	s_and_b64 s[12:13], s[12:13], s[10:11]
	s_mul_i32 s14, s13, 24
	s_mul_hi_u32 s15, s12, 24
	s_mul_i32 s16, s12, 24
	s_add_i32 s15, s15, s14
	s_waitcnt vmcnt(0)
	v_add_co_u32 v0, vcc_lo, v9, s16
	v_add_co_ci_u32_e64 v1, null, s15, v10, vcc_lo
	s_and_saveexec_b32 s14, s4
	s_cbranch_execz .LBB10_123
; %bb.122:
	v_mov_b32_e32 v16, s5
	v_mov_b32_e32 v17, v15
	;; [unrolled: 1-line block ×4, first 2 shown]
	global_store_dwordx4 v[0:1], v[16:19], off offset:8
.LBB10_123:
	s_or_b32 exec_lo, exec_lo, s14
	s_lshl_b64 s[12:13], s[12:13], 12
	v_and_or_b32 v13, 0xffffff1f, v13, 32
	v_add_co_u32 v11, vcc_lo, v11, s12
	v_add_co_ci_u32_e64 v12, null, s13, v12, vcc_lo
	s_mov_b32 s12, 0
	v_add_co_u32 v17, vcc_lo, v11, v38
	s_mov_b32 s15, s12
	s_mov_b32 s13, s12
	;; [unrolled: 1-line block ×3, first 2 shown]
	v_mov_b32_e32 v16, v15
	v_readfirstlane_b32 s16, v11
	v_readfirstlane_b32 s17, v12
	v_mov_b32_e32 v22, s15
	v_add_co_ci_u32_e64 v18, null, 0, v12, vcc_lo
	v_mov_b32_e32 v21, s14
	v_mov_b32_e32 v20, s13
	;; [unrolled: 1-line block ×3, first 2 shown]
	global_store_dwordx4 v38, v[13:16], s[16:17]
	global_store_dwordx4 v38, v[19:22], s[16:17] offset:16
	global_store_dwordx4 v38, v[19:22], s[16:17] offset:32
	;; [unrolled: 1-line block ×3, first 2 shown]
	s_and_saveexec_b32 s5, s4
	s_cbranch_execz .LBB10_131
; %bb.124:
	v_mov_b32_e32 v15, 0
	v_mov_b32_e32 v19, s10
	;; [unrolled: 1-line block ×3, first 2 shown]
	s_clause 0x1
	global_load_dwordx2 v[21:22], v15, s[6:7] offset:32 glc dlc
	global_load_dwordx2 v[11:12], v15, s[6:7] offset:40
	s_waitcnt vmcnt(0)
	v_readfirstlane_b32 s12, v11
	v_readfirstlane_b32 s13, v12
	s_and_b64 s[12:13], s[12:13], s[10:11]
	s_mul_i32 s13, s13, 24
	s_mul_hi_u32 s14, s12, 24
	s_mul_i32 s12, s12, 24
	s_add_i32 s14, s14, s13
	v_add_co_u32 v13, vcc_lo, v9, s12
	v_add_co_ci_u32_e64 v14, null, s14, v10, vcc_lo
	s_mov_b32 s12, exec_lo
	global_store_dwordx2 v[13:14], v[21:22], off
	s_waitcnt_vscnt null, 0x0
	global_atomic_cmpswap_x2 v[11:12], v15, v[19:22], s[6:7] offset:32 glc
	s_waitcnt vmcnt(0)
	v_cmpx_ne_u64_e64 v[11:12], v[21:22]
	s_cbranch_execz .LBB10_127
; %bb.125:
	s_mov_b32 s13, 0
.LBB10_126:                             ; =>This Inner Loop Header: Depth=1
	v_mov_b32_e32 v9, s10
	v_mov_b32_e32 v10, s11
	s_sleep 1
	global_store_dwordx2 v[13:14], v[11:12], off
	s_waitcnt_vscnt null, 0x0
	global_atomic_cmpswap_x2 v[9:10], v15, v[9:12], s[6:7] offset:32 glc
	s_waitcnt vmcnt(0)
	v_cmp_eq_u64_e32 vcc_lo, v[9:10], v[11:12]
	v_mov_b32_e32 v12, v10
	v_mov_b32_e32 v11, v9
	s_or_b32 s13, vcc_lo, s13
	s_andn2_b32 exec_lo, exec_lo, s13
	s_cbranch_execnz .LBB10_126
.LBB10_127:
	s_or_b32 exec_lo, exec_lo, s12
	v_mov_b32_e32 v12, 0
	s_mov_b32 s13, exec_lo
	s_mov_b32 s12, exec_lo
	v_mbcnt_lo_u32_b32 v11, s13, 0
	global_load_dwordx2 v[9:10], v12, s[6:7] offset:16
	v_cmpx_eq_u32_e32 0, v11
	s_cbranch_execz .LBB10_129
; %bb.128:
	s_bcnt1_i32_b32 s13, s13
	v_mov_b32_e32 v11, s13
	s_waitcnt vmcnt(0)
	global_atomic_add_x2 v[9:10], v[11:12], off offset:8
.LBB10_129:
	s_or_b32 exec_lo, exec_lo, s12
	s_waitcnt vmcnt(0)
	global_load_dwordx2 v[11:12], v[9:10], off offset:16
	s_waitcnt vmcnt(0)
	v_cmp_eq_u64_e32 vcc_lo, 0, v[11:12]
	s_cbranch_vccnz .LBB10_131
; %bb.130:
	global_load_dword v9, v[9:10], off offset:24
	v_mov_b32_e32 v10, 0
	s_waitcnt vmcnt(0)
	v_readfirstlane_b32 s12, v9
	s_waitcnt_vscnt null, 0x0
	global_store_dwordx2 v[11:12], v[9:10], off
	s_and_b32 m0, s12, 0x7fffff
	s_sendmsg sendmsg(MSG_INTERRUPT)
.LBB10_131:
	s_or_b32 exec_lo, exec_lo, s5
	s_branch .LBB10_135
	.p2align	6
.LBB10_132:                             ;   in Loop: Header=BB10_135 Depth=1
	s_or_b32 exec_lo, exec_lo, s5
	v_readfirstlane_b32 s5, v9
	s_cmp_eq_u32 s5, 0
	s_cbranch_scc1 .LBB10_134
; %bb.133:                              ;   in Loop: Header=BB10_135 Depth=1
	s_sleep 1
	s_cbranch_execnz .LBB10_135
	s_branch .LBB10_137
	.p2align	6
.LBB10_134:
	s_branch .LBB10_137
.LBB10_135:                             ; =>This Inner Loop Header: Depth=1
	v_mov_b32_e32 v9, 1
	s_and_saveexec_b32 s5, s4
	s_cbranch_execz .LBB10_132
; %bb.136:                              ;   in Loop: Header=BB10_135 Depth=1
	global_load_dword v9, v[0:1], off offset:20 glc dlc
	s_waitcnt vmcnt(0)
	buffer_gl1_inv
	buffer_gl0_inv
	v_and_b32_e32 v9, 1, v9
	s_branch .LBB10_132
.LBB10_137:
	global_load_dwordx2 v[9:10], v[17:18], off
	s_and_saveexec_b32 s12, s4
	s_cbranch_execz .LBB10_141
; %bb.138:
	v_mov_b32_e32 v15, 0
	s_clause 0x2
	global_load_dwordx2 v[0:1], v15, s[6:7] offset:40
	global_load_dwordx2 v[18:19], v15, s[6:7] offset:24 glc dlc
	global_load_dwordx2 v[11:12], v15, s[6:7]
	s_waitcnt vmcnt(2)
	v_readfirstlane_b32 s14, v0
	v_readfirstlane_b32 s15, v1
	s_add_u32 s13, s14, 1
	s_addc_u32 s16, s15, 0
	s_add_u32 s4, s13, s10
	s_addc_u32 s5, s16, s11
	s_cmp_eq_u64 s[4:5], 0
	s_cselect_b32 s5, s16, s5
	s_cselect_b32 s4, s13, s4
	v_mov_b32_e32 v17, s5
	s_and_b64 s[10:11], s[4:5], s[14:15]
	v_mov_b32_e32 v16, s4
	s_mul_i32 s11, s11, 24
	s_mul_hi_u32 s13, s10, 24
	s_mul_i32 s10, s10, 24
	s_add_i32 s13, s13, s11
	s_waitcnt vmcnt(0)
	v_add_co_u32 v0, vcc_lo, v11, s10
	v_add_co_ci_u32_e64 v1, null, s13, v12, vcc_lo
	global_store_dwordx2 v[0:1], v[18:19], off
	s_waitcnt_vscnt null, 0x0
	global_atomic_cmpswap_x2 v[13:14], v15, v[16:19], s[6:7] offset:24 glc
	s_waitcnt vmcnt(0)
	v_cmp_ne_u64_e32 vcc_lo, v[13:14], v[18:19]
	s_and_b32 exec_lo, exec_lo, vcc_lo
	s_cbranch_execz .LBB10_141
; %bb.139:
	s_mov_b32 s10, 0
.LBB10_140:                             ; =>This Inner Loop Header: Depth=1
	v_mov_b32_e32 v11, s4
	v_mov_b32_e32 v12, s5
	s_sleep 1
	global_store_dwordx2 v[0:1], v[13:14], off
	s_waitcnt_vscnt null, 0x0
	global_atomic_cmpswap_x2 v[11:12], v15, v[11:14], s[6:7] offset:24 glc
	s_waitcnt vmcnt(0)
	v_cmp_eq_u64_e32 vcc_lo, v[11:12], v[13:14]
	v_mov_b32_e32 v14, v12
	v_mov_b32_e32 v13, v11
	s_or_b32 s10, vcc_lo, s10
	s_andn2_b32 exec_lo, exec_lo, s10
	s_cbranch_execnz .LBB10_140
.LBB10_141:
	s_or_b32 exec_lo, exec_lo, s12
.LBB10_142:
	v_mov_b32_e32 v12, v3
	v_mov_b32_e32 v11, v2
	s_mov_b32 s4, 0
.LBB10_143:                             ; =>This Inner Loop Header: Depth=1
	global_load_ubyte v13, v[11:12], off
	v_add_co_u32 v0, vcc_lo, v11, 1
	v_add_co_ci_u32_e64 v1, null, 0, v12, vcc_lo
	v_mov_b32_e32 v12, v1
	v_mov_b32_e32 v11, v0
	s_waitcnt vmcnt(0)
	v_cmp_eq_u16_e32 vcc_lo, 0, v13
	s_or_b32 s4, vcc_lo, s4
	s_andn2_b32 exec_lo, exec_lo, s4
	s_cbranch_execnz .LBB10_143
; %bb.144:
	s_or_b32 exec_lo, exec_lo, s4
	s_mov_b32 s4, exec_lo
	v_cmpx_ne_u64_e32 0, v[2:3]
	s_xor_b32 s14, exec_lo, s4
	s_cbranch_execz .LBB10_230
; %bb.145:
	v_sub_nc_u32_e32 v0, v0, v2
	v_and_b32_e32 v39, 2, v9
	v_mov_b32_e32 v14, 0
	v_and_b32_e32 v9, -3, v9
	v_mov_b32_e32 v15, 2
	v_ashrrev_i32_e32 v1, 31, v0
	v_mov_b32_e32 v16, 1
	s_mov_b32 s16, 0
	s_mov_b32 s15, 0
	s_branch .LBB10_147
.LBB10_146:                             ;   in Loop: Header=BB10_147 Depth=1
	s_or_b32 exec_lo, exec_lo, s12
	v_sub_co_u32 v0, vcc_lo, v0, v33
	v_sub_co_ci_u32_e64 v1, null, v1, v34, vcc_lo
	v_add_co_u32 v2, s4, v2, v33
	v_add_co_ci_u32_e64 v3, null, v3, v34, s4
	v_cmp_eq_u64_e32 vcc_lo, 0, v[0:1]
	s_or_b32 s15, vcc_lo, s15
	s_andn2_b32 exec_lo, exec_lo, s15
	s_cbranch_execz .LBB10_229
.LBB10_147:                             ; =>This Loop Header: Depth=1
                                        ;     Child Loop BB10_150 Depth 2
                                        ;     Child Loop BB10_158 Depth 2
	;; [unrolled: 1-line block ×11, first 2 shown]
	v_cmp_gt_u64_e32 vcc_lo, 56, v[0:1]
	s_mov_b32 s5, exec_lo
	v_cndmask_b32_e32 v34, 0, v1, vcc_lo
	v_cndmask_b32_e32 v33, 56, v0, vcc_lo
	v_add_co_u32 v19, vcc_lo, v2, 8
	v_add_co_ci_u32_e64 v20, null, 0, v3, vcc_lo
	v_cmpx_gt_u64_e32 8, v[0:1]
	s_xor_b32 s5, exec_lo, s5
	s_cbranch_execz .LBB10_153
; %bb.148:                              ;   in Loop: Header=BB10_147 Depth=1
	v_mov_b32_e32 v11, 0
	v_mov_b32_e32 v12, 0
	s_mov_b32 s12, exec_lo
	v_cmpx_ne_u64_e32 0, v[0:1]
	s_cbranch_execz .LBB10_152
; %bb.149:                              ;   in Loop: Header=BB10_147 Depth=1
	v_lshlrev_b64 v[17:18], 3, v[33:34]
	v_mov_b32_e32 v11, 0
	v_mov_b32_e32 v19, v3
	;; [unrolled: 1-line block ×4, first 2 shown]
	s_mov_b64 s[10:11], 0
	s_mov_b32 s13, 0
	.p2align	6
.LBB10_150:                             ;   Parent Loop BB10_147 Depth=1
                                        ; =>  This Inner Loop Header: Depth=2
	global_load_ubyte v13, v[18:19], off
	v_mov_b32_e32 v21, s16
	v_add_co_u32 v18, vcc_lo, v18, 1
	v_add_co_ci_u32_e64 v19, null, 0, v19, vcc_lo
	s_waitcnt vmcnt(0)
	v_and_b32_e32 v20, 0xffff, v13
	v_lshlrev_b64 v[20:21], s10, v[20:21]
	s_add_u32 s10, s10, 8
	s_addc_u32 s11, s11, 0
	v_cmp_eq_u32_e64 s4, s10, v17
	v_or_b32_e32 v12, v21, v12
	v_or_b32_e32 v11, v20, v11
	s_or_b32 s13, s4, s13
	s_andn2_b32 exec_lo, exec_lo, s13
	s_cbranch_execnz .LBB10_150
; %bb.151:                              ;   in Loop: Header=BB10_147 Depth=1
	s_or_b32 exec_lo, exec_lo, s13
.LBB10_152:                             ;   in Loop: Header=BB10_147 Depth=1
	s_or_b32 exec_lo, exec_lo, s12
	v_mov_b32_e32 v20, v3
	v_mov_b32_e32 v19, v2
.LBB10_153:                             ;   in Loop: Header=BB10_147 Depth=1
	s_or_saveexec_b32 s4, s5
	v_mov_b32_e32 v13, 0
	s_xor_b32 exec_lo, exec_lo, s4
	s_cbranch_execz .LBB10_155
; %bb.154:                              ;   in Loop: Header=BB10_147 Depth=1
	global_load_dwordx2 v[11:12], v[2:3], off
	v_add_nc_u32_e32 v13, -8, v33
.LBB10_155:                             ;   in Loop: Header=BB10_147 Depth=1
	s_or_b32 exec_lo, exec_lo, s4
	v_add_co_u32 v21, s4, v19, 8
	v_add_co_ci_u32_e64 v22, null, 0, v20, s4
                                        ; implicit-def: $vgpr17_vgpr18
	s_mov_b32 s4, exec_lo
	v_cmpx_gt_u32_e32 8, v13
	s_xor_b32 s12, exec_lo, s4
	s_cbranch_execz .LBB10_161
; %bb.156:                              ;   in Loop: Header=BB10_147 Depth=1
	v_mov_b32_e32 v17, 0
	v_mov_b32_e32 v18, 0
	s_mov_b32 s13, exec_lo
	v_cmpx_ne_u32_e32 0, v13
	s_cbranch_execz .LBB10_160
; %bb.157:                              ;   in Loop: Header=BB10_147 Depth=1
	v_mov_b32_e32 v17, 0
	v_mov_b32_e32 v18, 0
	s_mov_b64 s[4:5], 0
	s_mov_b32 s17, 0
	s_mov_b64 s[10:11], 0
	.p2align	6
.LBB10_158:                             ;   Parent Loop BB10_147 Depth=1
                                        ; =>  This Inner Loop Header: Depth=2
	v_add_co_u32 v21, vcc_lo, v19, s10
	v_add_co_ci_u32_e64 v22, null, s11, v20, vcc_lo
	s_add_u32 s10, s10, 1
	s_addc_u32 s11, s11, 0
	v_cmp_eq_u32_e32 vcc_lo, s10, v13
	global_load_ubyte v21, v[21:22], off
	v_mov_b32_e32 v22, s16
	s_waitcnt vmcnt(0)
	v_and_b32_e32 v21, 0xffff, v21
	v_lshlrev_b64 v[21:22], s4, v[21:22]
	s_add_u32 s4, s4, 8
	s_addc_u32 s5, s5, 0
	s_or_b32 s17, vcc_lo, s17
	v_or_b32_e32 v18, v22, v18
	v_or_b32_e32 v17, v21, v17
	s_andn2_b32 exec_lo, exec_lo, s17
	s_cbranch_execnz .LBB10_158
; %bb.159:                              ;   in Loop: Header=BB10_147 Depth=1
	s_or_b32 exec_lo, exec_lo, s17
.LBB10_160:                             ;   in Loop: Header=BB10_147 Depth=1
	s_or_b32 exec_lo, exec_lo, s13
	v_mov_b32_e32 v22, v20
	v_mov_b32_e32 v21, v19
                                        ; implicit-def: $vgpr13
.LBB10_161:                             ;   in Loop: Header=BB10_147 Depth=1
	s_or_saveexec_b32 s4, s12
	v_mov_b32_e32 v25, 0
	s_xor_b32 exec_lo, exec_lo, s4
	s_cbranch_execz .LBB10_163
; %bb.162:                              ;   in Loop: Header=BB10_147 Depth=1
	global_load_dwordx2 v[17:18], v[19:20], off
	v_add_nc_u32_e32 v25, -8, v13
.LBB10_163:                             ;   in Loop: Header=BB10_147 Depth=1
	s_or_b32 exec_lo, exec_lo, s4
	v_add_co_u32 v23, s4, v21, 8
	v_add_co_ci_u32_e64 v24, null, 0, v22, s4
	s_mov_b32 s4, exec_lo
	v_cmpx_gt_u32_e32 8, v25
	s_xor_b32 s12, exec_lo, s4
	s_cbranch_execz .LBB10_169
; %bb.164:                              ;   in Loop: Header=BB10_147 Depth=1
	v_mov_b32_e32 v19, 0
	v_mov_b32_e32 v20, 0
	s_mov_b32 s13, exec_lo
	v_cmpx_ne_u32_e32 0, v25
	s_cbranch_execz .LBB10_168
; %bb.165:                              ;   in Loop: Header=BB10_147 Depth=1
	v_mov_b32_e32 v19, 0
	v_mov_b32_e32 v20, 0
	s_mov_b64 s[4:5], 0
	s_mov_b32 s17, 0
	s_mov_b64 s[10:11], 0
	.p2align	6
.LBB10_166:                             ;   Parent Loop BB10_147 Depth=1
                                        ; =>  This Inner Loop Header: Depth=2
	v_add_co_u32 v23, vcc_lo, v21, s10
	v_add_co_ci_u32_e64 v24, null, s11, v22, vcc_lo
	s_add_u32 s10, s10, 1
	s_addc_u32 s11, s11, 0
	v_cmp_eq_u32_e32 vcc_lo, s10, v25
	global_load_ubyte v13, v[23:24], off
	v_mov_b32_e32 v24, s16
	s_waitcnt vmcnt(0)
	v_and_b32_e32 v23, 0xffff, v13
	v_lshlrev_b64 v[23:24], s4, v[23:24]
	s_add_u32 s4, s4, 8
	s_addc_u32 s5, s5, 0
	s_or_b32 s17, vcc_lo, s17
	v_or_b32_e32 v20, v24, v20
	v_or_b32_e32 v19, v23, v19
	s_andn2_b32 exec_lo, exec_lo, s17
	s_cbranch_execnz .LBB10_166
; %bb.167:                              ;   in Loop: Header=BB10_147 Depth=1
	s_or_b32 exec_lo, exec_lo, s17
.LBB10_168:                             ;   in Loop: Header=BB10_147 Depth=1
	s_or_b32 exec_lo, exec_lo, s13
	v_mov_b32_e32 v24, v22
	v_mov_b32_e32 v23, v21
                                        ; implicit-def: $vgpr25
.LBB10_169:                             ;   in Loop: Header=BB10_147 Depth=1
	s_or_saveexec_b32 s4, s12
	v_mov_b32_e32 v13, 0
	s_xor_b32 exec_lo, exec_lo, s4
	s_cbranch_execz .LBB10_171
; %bb.170:                              ;   in Loop: Header=BB10_147 Depth=1
	global_load_dwordx2 v[19:20], v[21:22], off
	v_add_nc_u32_e32 v13, -8, v25
.LBB10_171:                             ;   in Loop: Header=BB10_147 Depth=1
	s_or_b32 exec_lo, exec_lo, s4
	v_add_co_u32 v25, s4, v23, 8
	v_add_co_ci_u32_e64 v26, null, 0, v24, s4
                                        ; implicit-def: $vgpr21_vgpr22
	s_mov_b32 s4, exec_lo
	v_cmpx_gt_u32_e32 8, v13
	s_xor_b32 s12, exec_lo, s4
	s_cbranch_execz .LBB10_177
; %bb.172:                              ;   in Loop: Header=BB10_147 Depth=1
	v_mov_b32_e32 v21, 0
	v_mov_b32_e32 v22, 0
	s_mov_b32 s13, exec_lo
	v_cmpx_ne_u32_e32 0, v13
	s_cbranch_execz .LBB10_176
; %bb.173:                              ;   in Loop: Header=BB10_147 Depth=1
	v_mov_b32_e32 v21, 0
	v_mov_b32_e32 v22, 0
	s_mov_b64 s[4:5], 0
	s_mov_b32 s17, 0
	s_mov_b64 s[10:11], 0
	.p2align	6
.LBB10_174:                             ;   Parent Loop BB10_147 Depth=1
                                        ; =>  This Inner Loop Header: Depth=2
	v_add_co_u32 v25, vcc_lo, v23, s10
	v_add_co_ci_u32_e64 v26, null, s11, v24, vcc_lo
	s_add_u32 s10, s10, 1
	s_addc_u32 s11, s11, 0
	v_cmp_eq_u32_e32 vcc_lo, s10, v13
	global_load_ubyte v25, v[25:26], off
	v_mov_b32_e32 v26, s16
	s_waitcnt vmcnt(0)
	v_and_b32_e32 v25, 0xffff, v25
	v_lshlrev_b64 v[25:26], s4, v[25:26]
	s_add_u32 s4, s4, 8
	s_addc_u32 s5, s5, 0
	s_or_b32 s17, vcc_lo, s17
	v_or_b32_e32 v22, v26, v22
	v_or_b32_e32 v21, v25, v21
	s_andn2_b32 exec_lo, exec_lo, s17
	s_cbranch_execnz .LBB10_174
; %bb.175:                              ;   in Loop: Header=BB10_147 Depth=1
	s_or_b32 exec_lo, exec_lo, s17
.LBB10_176:                             ;   in Loop: Header=BB10_147 Depth=1
	s_or_b32 exec_lo, exec_lo, s13
	v_mov_b32_e32 v26, v24
	v_mov_b32_e32 v25, v23
                                        ; implicit-def: $vgpr13
.LBB10_177:                             ;   in Loop: Header=BB10_147 Depth=1
	s_or_saveexec_b32 s4, s12
	v_mov_b32_e32 v29, 0
	s_xor_b32 exec_lo, exec_lo, s4
	s_cbranch_execz .LBB10_179
; %bb.178:                              ;   in Loop: Header=BB10_147 Depth=1
	global_load_dwordx2 v[21:22], v[23:24], off
	v_add_nc_u32_e32 v29, -8, v13
.LBB10_179:                             ;   in Loop: Header=BB10_147 Depth=1
	s_or_b32 exec_lo, exec_lo, s4
	v_add_co_u32 v27, s4, v25, 8
	v_add_co_ci_u32_e64 v28, null, 0, v26, s4
	s_mov_b32 s4, exec_lo
	v_cmpx_gt_u32_e32 8, v29
	s_xor_b32 s12, exec_lo, s4
	s_cbranch_execz .LBB10_185
; %bb.180:                              ;   in Loop: Header=BB10_147 Depth=1
	v_mov_b32_e32 v23, 0
	v_mov_b32_e32 v24, 0
	s_mov_b32 s13, exec_lo
	v_cmpx_ne_u32_e32 0, v29
	s_cbranch_execz .LBB10_184
; %bb.181:                              ;   in Loop: Header=BB10_147 Depth=1
	v_mov_b32_e32 v23, 0
	v_mov_b32_e32 v24, 0
	s_mov_b64 s[4:5], 0
	s_mov_b32 s17, 0
	s_mov_b64 s[10:11], 0
	.p2align	6
.LBB10_182:                             ;   Parent Loop BB10_147 Depth=1
                                        ; =>  This Inner Loop Header: Depth=2
	v_add_co_u32 v27, vcc_lo, v25, s10
	v_add_co_ci_u32_e64 v28, null, s11, v26, vcc_lo
	s_add_u32 s10, s10, 1
	s_addc_u32 s11, s11, 0
	v_cmp_eq_u32_e32 vcc_lo, s10, v29
	global_load_ubyte v13, v[27:28], off
	v_mov_b32_e32 v28, s16
	s_waitcnt vmcnt(0)
	v_and_b32_e32 v27, 0xffff, v13
	v_lshlrev_b64 v[27:28], s4, v[27:28]
	s_add_u32 s4, s4, 8
	s_addc_u32 s5, s5, 0
	s_or_b32 s17, vcc_lo, s17
	v_or_b32_e32 v24, v28, v24
	v_or_b32_e32 v23, v27, v23
	s_andn2_b32 exec_lo, exec_lo, s17
	s_cbranch_execnz .LBB10_182
; %bb.183:                              ;   in Loop: Header=BB10_147 Depth=1
	s_or_b32 exec_lo, exec_lo, s17
.LBB10_184:                             ;   in Loop: Header=BB10_147 Depth=1
	s_or_b32 exec_lo, exec_lo, s13
	v_mov_b32_e32 v28, v26
	v_mov_b32_e32 v27, v25
                                        ; implicit-def: $vgpr29
.LBB10_185:                             ;   in Loop: Header=BB10_147 Depth=1
	s_or_saveexec_b32 s4, s12
	v_mov_b32_e32 v13, 0
	s_xor_b32 exec_lo, exec_lo, s4
	s_cbranch_execz .LBB10_187
; %bb.186:                              ;   in Loop: Header=BB10_147 Depth=1
	global_load_dwordx2 v[23:24], v[25:26], off
	v_add_nc_u32_e32 v13, -8, v29
.LBB10_187:                             ;   in Loop: Header=BB10_147 Depth=1
	s_or_b32 exec_lo, exec_lo, s4
	v_add_co_u32 v29, s4, v27, 8
	v_add_co_ci_u32_e64 v30, null, 0, v28, s4
                                        ; implicit-def: $vgpr25_vgpr26
	s_mov_b32 s4, exec_lo
	v_cmpx_gt_u32_e32 8, v13
	s_xor_b32 s12, exec_lo, s4
	s_cbranch_execz .LBB10_193
; %bb.188:                              ;   in Loop: Header=BB10_147 Depth=1
	v_mov_b32_e32 v25, 0
	v_mov_b32_e32 v26, 0
	s_mov_b32 s13, exec_lo
	v_cmpx_ne_u32_e32 0, v13
	s_cbranch_execz .LBB10_192
; %bb.189:                              ;   in Loop: Header=BB10_147 Depth=1
	v_mov_b32_e32 v25, 0
	v_mov_b32_e32 v26, 0
	s_mov_b64 s[4:5], 0
	s_mov_b32 s17, 0
	s_mov_b64 s[10:11], 0
	.p2align	6
.LBB10_190:                             ;   Parent Loop BB10_147 Depth=1
                                        ; =>  This Inner Loop Header: Depth=2
	v_add_co_u32 v29, vcc_lo, v27, s10
	v_add_co_ci_u32_e64 v30, null, s11, v28, vcc_lo
	s_add_u32 s10, s10, 1
	s_addc_u32 s11, s11, 0
	v_cmp_eq_u32_e32 vcc_lo, s10, v13
	global_load_ubyte v29, v[29:30], off
	v_mov_b32_e32 v30, s16
	s_waitcnt vmcnt(0)
	v_and_b32_e32 v29, 0xffff, v29
	v_lshlrev_b64 v[29:30], s4, v[29:30]
	s_add_u32 s4, s4, 8
	s_addc_u32 s5, s5, 0
	s_or_b32 s17, vcc_lo, s17
	v_or_b32_e32 v26, v30, v26
	v_or_b32_e32 v25, v29, v25
	s_andn2_b32 exec_lo, exec_lo, s17
	s_cbranch_execnz .LBB10_190
; %bb.191:                              ;   in Loop: Header=BB10_147 Depth=1
	s_or_b32 exec_lo, exec_lo, s17
.LBB10_192:                             ;   in Loop: Header=BB10_147 Depth=1
	s_or_b32 exec_lo, exec_lo, s13
	v_mov_b32_e32 v30, v28
	v_mov_b32_e32 v29, v27
                                        ; implicit-def: $vgpr13
.LBB10_193:                             ;   in Loop: Header=BB10_147 Depth=1
	s_or_saveexec_b32 s4, s12
	v_mov_b32_e32 v31, 0
	s_xor_b32 exec_lo, exec_lo, s4
	s_cbranch_execz .LBB10_195
; %bb.194:                              ;   in Loop: Header=BB10_147 Depth=1
	global_load_dwordx2 v[25:26], v[27:28], off
	v_add_nc_u32_e32 v31, -8, v13
.LBB10_195:                             ;   in Loop: Header=BB10_147 Depth=1
	s_or_b32 exec_lo, exec_lo, s4
	s_mov_b32 s4, exec_lo
	v_cmpx_gt_u32_e32 8, v31
	s_xor_b32 s10, exec_lo, s4
	s_cbranch_execz .LBB10_201
; %bb.196:                              ;   in Loop: Header=BB10_147 Depth=1
	v_mov_b32_e32 v27, 0
	v_mov_b32_e32 v28, 0
	s_mov_b32 s11, exec_lo
	v_cmpx_ne_u32_e32 0, v31
	s_cbranch_execz .LBB10_200
; %bb.197:                              ;   in Loop: Header=BB10_147 Depth=1
	v_mov_b32_e32 v27, 0
	v_mov_b32_e32 v28, 0
	s_mov_b64 s[4:5], 0
	s_mov_b32 s12, 0
	.p2align	6
.LBB10_198:                             ;   Parent Loop BB10_147 Depth=1
                                        ; =>  This Inner Loop Header: Depth=2
	global_load_ubyte v13, v[29:30], off
	v_mov_b32_e32 v36, s16
	v_add_nc_u32_e32 v31, -1, v31
	v_add_co_u32 v29, vcc_lo, v29, 1
	v_add_co_ci_u32_e64 v30, null, 0, v30, vcc_lo
	v_cmp_eq_u32_e32 vcc_lo, 0, v31
	s_waitcnt vmcnt(0)
	v_and_b32_e32 v35, 0xffff, v13
	v_lshlrev_b64 v[35:36], s4, v[35:36]
	s_add_u32 s4, s4, 8
	s_addc_u32 s5, s5, 0
	s_or_b32 s12, vcc_lo, s12
	v_or_b32_e32 v28, v36, v28
	v_or_b32_e32 v27, v35, v27
	s_andn2_b32 exec_lo, exec_lo, s12
	s_cbranch_execnz .LBB10_198
; %bb.199:                              ;   in Loop: Header=BB10_147 Depth=1
	s_or_b32 exec_lo, exec_lo, s12
.LBB10_200:                             ;   in Loop: Header=BB10_147 Depth=1
	s_or_b32 exec_lo, exec_lo, s11
                                        ; implicit-def: $vgpr29_vgpr30
.LBB10_201:                             ;   in Loop: Header=BB10_147 Depth=1
	s_andn2_saveexec_b32 s4, s10
	s_cbranch_execz .LBB10_203
; %bb.202:                              ;   in Loop: Header=BB10_147 Depth=1
	global_load_dwordx2 v[27:28], v[29:30], off
.LBB10_203:                             ;   in Loop: Header=BB10_147 Depth=1
	s_or_b32 exec_lo, exec_lo, s4
	v_readfirstlane_b32 s4, v37
	v_mov_b32_e32 v35, 0
	v_mov_b32_e32 v36, 0
	v_cmp_eq_u32_e64 s4, s4, v37
	s_and_saveexec_b32 s5, s4
	s_cbranch_execz .LBB10_209
; %bb.204:                              ;   in Loop: Header=BB10_147 Depth=1
	global_load_dwordx2 v[31:32], v14, s[6:7] offset:24 glc dlc
	s_waitcnt vmcnt(0)
	buffer_gl1_inv
	buffer_gl0_inv
	s_clause 0x1
	global_load_dwordx2 v[29:30], v14, s[6:7] offset:40
	global_load_dwordx2 v[35:36], v14, s[6:7]
	s_mov_b32 s10, exec_lo
	s_waitcnt vmcnt(1)
	v_and_b32_e32 v13, v30, v32
	v_and_b32_e32 v29, v29, v31
	v_mul_lo_u32 v13, v13, 24
	v_mul_hi_u32 v30, v29, 24
	v_mul_lo_u32 v29, v29, 24
	v_add_nc_u32_e32 v13, v30, v13
	s_waitcnt vmcnt(0)
	v_add_co_u32 v29, vcc_lo, v35, v29
	v_add_co_ci_u32_e64 v30, null, v36, v13, vcc_lo
	global_load_dwordx2 v[29:30], v[29:30], off glc dlc
	s_waitcnt vmcnt(0)
	global_atomic_cmpswap_x2 v[35:36], v14, v[29:32], s[6:7] offset:24 glc
	s_waitcnt vmcnt(0)
	buffer_gl1_inv
	buffer_gl0_inv
	v_cmpx_ne_u64_e64 v[35:36], v[31:32]
	s_cbranch_execz .LBB10_208
; %bb.205:                              ;   in Loop: Header=BB10_147 Depth=1
	s_mov_b32 s11, 0
	.p2align	6
.LBB10_206:                             ;   Parent Loop BB10_147 Depth=1
                                        ; =>  This Inner Loop Header: Depth=2
	s_sleep 1
	s_clause 0x1
	global_load_dwordx2 v[29:30], v14, s[6:7] offset:40
	global_load_dwordx2 v[48:49], v14, s[6:7]
	v_mov_b32_e32 v31, v35
	v_mov_b32_e32 v32, v36
	s_waitcnt vmcnt(1)
	v_and_b32_e32 v13, v29, v31
	v_and_b32_e32 v29, v30, v32
	s_waitcnt vmcnt(0)
	v_mad_u64_u32 v[35:36], null, v13, 24, v[48:49]
	v_mov_b32_e32 v13, v36
	v_mad_u64_u32 v[29:30], null, v29, 24, v[13:14]
	v_mov_b32_e32 v36, v29
	global_load_dwordx2 v[29:30], v[35:36], off glc dlc
	s_waitcnt vmcnt(0)
	global_atomic_cmpswap_x2 v[35:36], v14, v[29:32], s[6:7] offset:24 glc
	s_waitcnt vmcnt(0)
	buffer_gl1_inv
	buffer_gl0_inv
	v_cmp_eq_u64_e32 vcc_lo, v[35:36], v[31:32]
	s_or_b32 s11, vcc_lo, s11
	s_andn2_b32 exec_lo, exec_lo, s11
	s_cbranch_execnz .LBB10_206
; %bb.207:                              ;   in Loop: Header=BB10_147 Depth=1
	s_or_b32 exec_lo, exec_lo, s11
.LBB10_208:                             ;   in Loop: Header=BB10_147 Depth=1
	s_or_b32 exec_lo, exec_lo, s10
.LBB10_209:                             ;   in Loop: Header=BB10_147 Depth=1
	s_or_b32 exec_lo, exec_lo, s5
	s_clause 0x1
	global_load_dwordx2 v[48:49], v14, s[6:7] offset:40
	global_load_dwordx4 v[29:32], v14, s[6:7]
	v_readfirstlane_b32 s11, v36
	v_readfirstlane_b32 s10, v35
	s_mov_b32 s5, exec_lo
	s_waitcnt vmcnt(1)
	v_readfirstlane_b32 s12, v48
	v_readfirstlane_b32 s13, v49
	s_and_b64 s[12:13], s[12:13], s[10:11]
	s_mul_i32 s17, s13, 24
	s_mul_hi_u32 s18, s12, 24
	s_mul_i32 s19, s12, 24
	s_add_i32 s18, s18, s17
	s_waitcnt vmcnt(0)
	v_add_co_u32 v35, vcc_lo, v29, s19
	v_add_co_ci_u32_e64 v36, null, s18, v30, vcc_lo
	s_and_saveexec_b32 s17, s4
	s_cbranch_execz .LBB10_211
; %bb.210:                              ;   in Loop: Header=BB10_147 Depth=1
	v_mov_b32_e32 v13, s5
	global_store_dwordx4 v[35:36], v[13:16], off offset:8
.LBB10_211:                             ;   in Loop: Header=BB10_147 Depth=1
	s_or_b32 exec_lo, exec_lo, s17
	v_cmp_gt_u64_e32 vcc_lo, 57, v[0:1]
	s_lshl_b64 s[12:13], s[12:13], 12
	v_and_b32_e32 v9, 0xffffff1f, v9
	v_lshl_add_u32 v48, v33, 2, 28
	v_cndmask_b32_e32 v13, 0, v39, vcc_lo
	v_add_co_u32 v31, vcc_lo, v31, s12
	v_add_co_ci_u32_e64 v32, null, s13, v32, vcc_lo
	v_or_b32_e32 v9, v9, v13
	v_readfirstlane_b32 s12, v31
	v_readfirstlane_b32 s13, v32
	v_and_or_b32 v9, 0x1e0, v48, v9
	global_store_dwordx4 v38, v[17:20], s[12:13] offset:16
	global_store_dwordx4 v38, v[21:24], s[12:13] offset:32
	global_store_dwordx4 v38, v[9:12], s[12:13]
	global_store_dwordx4 v38, v[25:28], s[12:13] offset:48
	s_and_saveexec_b32 s5, s4
	s_cbranch_execz .LBB10_219
; %bb.212:                              ;   in Loop: Header=BB10_147 Depth=1
	s_clause 0x1
	global_load_dwordx2 v[21:22], v14, s[6:7] offset:32 glc dlc
	global_load_dwordx2 v[9:10], v14, s[6:7] offset:40
	v_mov_b32_e32 v19, s10
	v_mov_b32_e32 v20, s11
	s_waitcnt vmcnt(0)
	v_readfirstlane_b32 s12, v9
	v_readfirstlane_b32 s13, v10
	s_and_b64 s[12:13], s[12:13], s[10:11]
	s_mul_i32 s13, s13, 24
	s_mul_hi_u32 s17, s12, 24
	s_mul_i32 s12, s12, 24
	s_add_i32 s17, s17, s13
	v_add_co_u32 v17, vcc_lo, v29, s12
	v_add_co_ci_u32_e64 v18, null, s17, v30, vcc_lo
	s_mov_b32 s12, exec_lo
	global_store_dwordx2 v[17:18], v[21:22], off
	s_waitcnt_vscnt null, 0x0
	global_atomic_cmpswap_x2 v[11:12], v14, v[19:22], s[6:7] offset:32 glc
	s_waitcnt vmcnt(0)
	v_cmpx_ne_u64_e64 v[11:12], v[21:22]
	s_cbranch_execz .LBB10_215
; %bb.213:                              ;   in Loop: Header=BB10_147 Depth=1
	s_mov_b32 s13, 0
.LBB10_214:                             ;   Parent Loop BB10_147 Depth=1
                                        ; =>  This Inner Loop Header: Depth=2
	v_mov_b32_e32 v9, s10
	v_mov_b32_e32 v10, s11
	s_sleep 1
	global_store_dwordx2 v[17:18], v[11:12], off
	s_waitcnt_vscnt null, 0x0
	global_atomic_cmpswap_x2 v[9:10], v14, v[9:12], s[6:7] offset:32 glc
	s_waitcnt vmcnt(0)
	v_cmp_eq_u64_e32 vcc_lo, v[9:10], v[11:12]
	v_mov_b32_e32 v12, v10
	v_mov_b32_e32 v11, v9
	s_or_b32 s13, vcc_lo, s13
	s_andn2_b32 exec_lo, exec_lo, s13
	s_cbranch_execnz .LBB10_214
.LBB10_215:                             ;   in Loop: Header=BB10_147 Depth=1
	s_or_b32 exec_lo, exec_lo, s12
	global_load_dwordx2 v[9:10], v14, s[6:7] offset:16
	s_mov_b32 s13, exec_lo
	s_mov_b32 s12, exec_lo
	v_mbcnt_lo_u32_b32 v11, s13, 0
	v_cmpx_eq_u32_e32 0, v11
	s_cbranch_execz .LBB10_217
; %bb.216:                              ;   in Loop: Header=BB10_147 Depth=1
	s_bcnt1_i32_b32 s13, s13
	v_mov_b32_e32 v13, s13
	s_waitcnt vmcnt(0)
	global_atomic_add_x2 v[9:10], v[13:14], off offset:8
.LBB10_217:                             ;   in Loop: Header=BB10_147 Depth=1
	s_or_b32 exec_lo, exec_lo, s12
	s_waitcnt vmcnt(0)
	global_load_dwordx2 v[11:12], v[9:10], off offset:16
	s_waitcnt vmcnt(0)
	v_cmp_eq_u64_e32 vcc_lo, 0, v[11:12]
	s_cbranch_vccnz .LBB10_219
; %bb.218:                              ;   in Loop: Header=BB10_147 Depth=1
	global_load_dword v13, v[9:10], off offset:24
	s_waitcnt vmcnt(0)
	v_readfirstlane_b32 s12, v13
	s_waitcnt_vscnt null, 0x0
	global_store_dwordx2 v[11:12], v[13:14], off
	s_and_b32 m0, s12, 0x7fffff
	s_sendmsg sendmsg(MSG_INTERRUPT)
.LBB10_219:                             ;   in Loop: Header=BB10_147 Depth=1
	s_or_b32 exec_lo, exec_lo, s5
	v_add_co_u32 v9, vcc_lo, v31, v38
	v_add_co_ci_u32_e64 v10, null, 0, v32, vcc_lo
	s_branch .LBB10_223
	.p2align	6
.LBB10_220:                             ;   in Loop: Header=BB10_223 Depth=2
	s_or_b32 exec_lo, exec_lo, s5
	v_readfirstlane_b32 s5, v11
	s_cmp_eq_u32 s5, 0
	s_cbranch_scc1 .LBB10_222
; %bb.221:                              ;   in Loop: Header=BB10_223 Depth=2
	s_sleep 1
	s_cbranch_execnz .LBB10_223
	s_branch .LBB10_225
	.p2align	6
.LBB10_222:                             ;   in Loop: Header=BB10_147 Depth=1
	s_branch .LBB10_225
.LBB10_223:                             ;   Parent Loop BB10_147 Depth=1
                                        ; =>  This Inner Loop Header: Depth=2
	v_mov_b32_e32 v11, 1
	s_and_saveexec_b32 s5, s4
	s_cbranch_execz .LBB10_220
; %bb.224:                              ;   in Loop: Header=BB10_223 Depth=2
	global_load_dword v11, v[35:36], off offset:20 glc dlc
	s_waitcnt vmcnt(0)
	buffer_gl1_inv
	buffer_gl0_inv
	v_and_b32_e32 v11, 1, v11
	s_branch .LBB10_220
.LBB10_225:                             ;   in Loop: Header=BB10_147 Depth=1
	global_load_dwordx2 v[9:10], v[9:10], off
	s_and_saveexec_b32 s12, s4
	s_cbranch_execz .LBB10_146
; %bb.226:                              ;   in Loop: Header=BB10_147 Depth=1
	s_clause 0x2
	global_load_dwordx2 v[11:12], v14, s[6:7] offset:40
	global_load_dwordx2 v[21:22], v14, s[6:7] offset:24 glc dlc
	global_load_dwordx2 v[17:18], v14, s[6:7]
	s_waitcnt vmcnt(2)
	v_readfirstlane_b32 s18, v11
	v_readfirstlane_b32 s19, v12
	s_add_u32 s13, s18, 1
	s_addc_u32 s17, s19, 0
	s_add_u32 s4, s13, s10
	s_addc_u32 s5, s17, s11
	s_cmp_eq_u64 s[4:5], 0
	s_cselect_b32 s5, s17, s5
	s_cselect_b32 s4, s13, s4
	v_mov_b32_e32 v20, s5
	s_and_b64 s[10:11], s[4:5], s[18:19]
	v_mov_b32_e32 v19, s4
	s_mul_i32 s11, s11, 24
	s_mul_hi_u32 s13, s10, 24
	s_mul_i32 s10, s10, 24
	s_add_i32 s13, s13, s11
	s_waitcnt vmcnt(0)
	v_add_co_u32 v11, vcc_lo, v17, s10
	v_add_co_ci_u32_e64 v12, null, s13, v18, vcc_lo
	global_store_dwordx2 v[11:12], v[21:22], off
	s_waitcnt_vscnt null, 0x0
	global_atomic_cmpswap_x2 v[19:20], v14, v[19:22], s[6:7] offset:24 glc
	s_waitcnt vmcnt(0)
	v_cmp_ne_u64_e32 vcc_lo, v[19:20], v[21:22]
	s_and_b32 exec_lo, exec_lo, vcc_lo
	s_cbranch_execz .LBB10_146
; %bb.227:                              ;   in Loop: Header=BB10_147 Depth=1
	s_mov_b32 s10, 0
.LBB10_228:                             ;   Parent Loop BB10_147 Depth=1
                                        ; =>  This Inner Loop Header: Depth=2
	v_mov_b32_e32 v17, s4
	v_mov_b32_e32 v18, s5
	s_sleep 1
	global_store_dwordx2 v[11:12], v[19:20], off
	s_waitcnt_vscnt null, 0x0
	global_atomic_cmpswap_x2 v[17:18], v14, v[17:20], s[6:7] offset:24 glc
	s_waitcnt vmcnt(0)
	v_cmp_eq_u64_e32 vcc_lo, v[17:18], v[19:20]
	v_mov_b32_e32 v20, v18
	v_mov_b32_e32 v19, v17
	s_or_b32 s10, vcc_lo, s10
	s_andn2_b32 exec_lo, exec_lo, s10
	s_cbranch_execnz .LBB10_228
	s_branch .LBB10_146
.LBB10_229:
	s_or_b32 exec_lo, exec_lo, s15
.LBB10_230:
	s_andn2_saveexec_b32 s14, s14
	s_cbranch_execz .LBB10_258
; %bb.231:
	v_readfirstlane_b32 s4, v37
	v_mov_b32_e32 v12, 0
	v_mov_b32_e32 v13, 0
	v_cmp_eq_u32_e64 s4, s4, v37
	s_and_saveexec_b32 s5, s4
	s_cbranch_execz .LBB10_237
; %bb.232:
	v_mov_b32_e32 v0, 0
	s_mov_b32 s10, exec_lo
	global_load_dwordx2 v[14:15], v0, s[6:7] offset:24 glc dlc
	s_waitcnt vmcnt(0)
	buffer_gl1_inv
	buffer_gl0_inv
	s_clause 0x1
	global_load_dwordx2 v[1:2], v0, s[6:7] offset:40
	global_load_dwordx2 v[11:12], v0, s[6:7]
	s_waitcnt vmcnt(1)
	v_and_b32_e32 v2, v2, v15
	v_and_b32_e32 v1, v1, v14
	v_mul_lo_u32 v2, v2, 24
	v_mul_hi_u32 v3, v1, 24
	v_mul_lo_u32 v1, v1, 24
	v_add_nc_u32_e32 v2, v3, v2
	s_waitcnt vmcnt(0)
	v_add_co_u32 v1, vcc_lo, v11, v1
	v_add_co_ci_u32_e64 v2, null, v12, v2, vcc_lo
	global_load_dwordx2 v[12:13], v[1:2], off glc dlc
	s_waitcnt vmcnt(0)
	global_atomic_cmpswap_x2 v[12:13], v0, v[12:15], s[6:7] offset:24 glc
	s_waitcnt vmcnt(0)
	buffer_gl1_inv
	buffer_gl0_inv
	v_cmpx_ne_u64_e64 v[12:13], v[14:15]
	s_cbranch_execz .LBB10_236
; %bb.233:
	s_mov_b32 s11, 0
	.p2align	6
.LBB10_234:                             ; =>This Inner Loop Header: Depth=1
	s_sleep 1
	s_clause 0x1
	global_load_dwordx2 v[1:2], v0, s[6:7] offset:40
	global_load_dwordx2 v[16:17], v0, s[6:7]
	v_mov_b32_e32 v15, v13
	v_mov_b32_e32 v14, v12
	s_waitcnt vmcnt(1)
	v_and_b32_e32 v1, v1, v14
	v_and_b32_e32 v2, v2, v15
	s_waitcnt vmcnt(0)
	v_mad_u64_u32 v[11:12], null, v1, 24, v[16:17]
	v_mov_b32_e32 v1, v12
	v_mad_u64_u32 v[1:2], null, v2, 24, v[1:2]
	v_mov_b32_e32 v12, v1
	global_load_dwordx2 v[12:13], v[11:12], off glc dlc
	s_waitcnt vmcnt(0)
	global_atomic_cmpswap_x2 v[12:13], v0, v[12:15], s[6:7] offset:24 glc
	s_waitcnt vmcnt(0)
	buffer_gl1_inv
	buffer_gl0_inv
	v_cmp_eq_u64_e32 vcc_lo, v[12:13], v[14:15]
	s_or_b32 s11, vcc_lo, s11
	s_andn2_b32 exec_lo, exec_lo, s11
	s_cbranch_execnz .LBB10_234
; %bb.235:
	s_or_b32 exec_lo, exec_lo, s11
.LBB10_236:
	s_or_b32 exec_lo, exec_lo, s10
.LBB10_237:
	s_or_b32 exec_lo, exec_lo, s5
	v_mov_b32_e32 v11, 0
	v_readfirstlane_b32 s11, v13
	v_readfirstlane_b32 s10, v12
	s_mov_b32 s5, exec_lo
	s_clause 0x1
	global_load_dwordx2 v[14:15], v11, s[6:7] offset:40
	global_load_dwordx4 v[0:3], v11, s[6:7]
	s_waitcnt vmcnt(1)
	v_readfirstlane_b32 s12, v14
	v_readfirstlane_b32 s13, v15
	s_and_b64 s[12:13], s[12:13], s[10:11]
	s_mul_i32 s15, s13, 24
	s_mul_hi_u32 s16, s12, 24
	s_mul_i32 s17, s12, 24
	s_add_i32 s16, s16, s15
	s_waitcnt vmcnt(0)
	v_add_co_u32 v13, vcc_lo, v0, s17
	v_add_co_ci_u32_e64 v14, null, s16, v1, vcc_lo
	s_and_saveexec_b32 s15, s4
	s_cbranch_execz .LBB10_239
; %bb.238:
	v_mov_b32_e32 v15, s5
	v_mov_b32_e32 v16, v11
	;; [unrolled: 1-line block ×4, first 2 shown]
	global_store_dwordx4 v[13:14], v[15:18], off offset:8
.LBB10_239:
	s_or_b32 exec_lo, exec_lo, s15
	s_lshl_b64 s[12:13], s[12:13], 12
	s_mov_b32 s16, 0
	v_add_co_u32 v2, vcc_lo, v2, s12
	v_add_co_ci_u32_e64 v3, null, s13, v3, vcc_lo
	s_mov_b32 s19, s16
	v_add_co_u32 v15, vcc_lo, v2, v38
	s_mov_b32 s17, s16
	s_mov_b32 s18, s16
	v_and_or_b32 v9, 0xffffff1f, v9, 32
	v_mov_b32_e32 v12, v11
	v_readfirstlane_b32 s12, v2
	v_readfirstlane_b32 s13, v3
	v_mov_b32_e32 v20, s19
	v_add_co_ci_u32_e64 v16, null, 0, v3, vcc_lo
	v_mov_b32_e32 v19, s18
	v_mov_b32_e32 v18, s17
	;; [unrolled: 1-line block ×3, first 2 shown]
	global_store_dwordx4 v38, v[9:12], s[12:13]
	global_store_dwordx4 v38, v[17:20], s[12:13] offset:16
	global_store_dwordx4 v38, v[17:20], s[12:13] offset:32
	;; [unrolled: 1-line block ×3, first 2 shown]
	s_and_saveexec_b32 s5, s4
	s_cbranch_execz .LBB10_247
; %bb.240:
	v_mov_b32_e32 v11, 0
	v_mov_b32_e32 v17, s10
	;; [unrolled: 1-line block ×3, first 2 shown]
	s_clause 0x1
	global_load_dwordx2 v[19:20], v11, s[6:7] offset:32 glc dlc
	global_load_dwordx2 v[2:3], v11, s[6:7] offset:40
	s_waitcnt vmcnt(0)
	v_readfirstlane_b32 s12, v2
	v_readfirstlane_b32 s13, v3
	s_and_b64 s[12:13], s[12:13], s[10:11]
	s_mul_i32 s13, s13, 24
	s_mul_hi_u32 s15, s12, 24
	s_mul_i32 s12, s12, 24
	s_add_i32 s15, s15, s13
	v_add_co_u32 v9, vcc_lo, v0, s12
	v_add_co_ci_u32_e64 v10, null, s15, v1, vcc_lo
	s_mov_b32 s12, exec_lo
	global_store_dwordx2 v[9:10], v[19:20], off
	s_waitcnt_vscnt null, 0x0
	global_atomic_cmpswap_x2 v[2:3], v11, v[17:20], s[6:7] offset:32 glc
	s_waitcnt vmcnt(0)
	v_cmpx_ne_u64_e64 v[2:3], v[19:20]
	s_cbranch_execz .LBB10_243
; %bb.241:
	s_mov_b32 s13, 0
.LBB10_242:                             ; =>This Inner Loop Header: Depth=1
	v_mov_b32_e32 v0, s10
	v_mov_b32_e32 v1, s11
	s_sleep 1
	global_store_dwordx2 v[9:10], v[2:3], off
	s_waitcnt_vscnt null, 0x0
	global_atomic_cmpswap_x2 v[0:1], v11, v[0:3], s[6:7] offset:32 glc
	s_waitcnt vmcnt(0)
	v_cmp_eq_u64_e32 vcc_lo, v[0:1], v[2:3]
	v_mov_b32_e32 v3, v1
	v_mov_b32_e32 v2, v0
	s_or_b32 s13, vcc_lo, s13
	s_andn2_b32 exec_lo, exec_lo, s13
	s_cbranch_execnz .LBB10_242
.LBB10_243:
	s_or_b32 exec_lo, exec_lo, s12
	v_mov_b32_e32 v3, 0
	s_mov_b32 s13, exec_lo
	s_mov_b32 s12, exec_lo
	v_mbcnt_lo_u32_b32 v2, s13, 0
	global_load_dwordx2 v[0:1], v3, s[6:7] offset:16
	v_cmpx_eq_u32_e32 0, v2
	s_cbranch_execz .LBB10_245
; %bb.244:
	s_bcnt1_i32_b32 s13, s13
	v_mov_b32_e32 v2, s13
	s_waitcnt vmcnt(0)
	global_atomic_add_x2 v[0:1], v[2:3], off offset:8
.LBB10_245:
	s_or_b32 exec_lo, exec_lo, s12
	s_waitcnt vmcnt(0)
	global_load_dwordx2 v[2:3], v[0:1], off offset:16
	s_waitcnt vmcnt(0)
	v_cmp_eq_u64_e32 vcc_lo, 0, v[2:3]
	s_cbranch_vccnz .LBB10_247
; %bb.246:
	global_load_dword v0, v[0:1], off offset:24
	v_mov_b32_e32 v1, 0
	s_waitcnt vmcnt(0)
	v_readfirstlane_b32 s12, v0
	s_waitcnt_vscnt null, 0x0
	global_store_dwordx2 v[2:3], v[0:1], off
	s_and_b32 m0, s12, 0x7fffff
	s_sendmsg sendmsg(MSG_INTERRUPT)
.LBB10_247:
	s_or_b32 exec_lo, exec_lo, s5
	s_branch .LBB10_251
	.p2align	6
.LBB10_248:                             ;   in Loop: Header=BB10_251 Depth=1
	s_or_b32 exec_lo, exec_lo, s5
	v_readfirstlane_b32 s5, v0
	s_cmp_eq_u32 s5, 0
	s_cbranch_scc1 .LBB10_250
; %bb.249:                              ;   in Loop: Header=BB10_251 Depth=1
	s_sleep 1
	s_cbranch_execnz .LBB10_251
	s_branch .LBB10_253
	.p2align	6
.LBB10_250:
	s_branch .LBB10_253
.LBB10_251:                             ; =>This Inner Loop Header: Depth=1
	v_mov_b32_e32 v0, 1
	s_and_saveexec_b32 s5, s4
	s_cbranch_execz .LBB10_248
; %bb.252:                              ;   in Loop: Header=BB10_251 Depth=1
	global_load_dword v0, v[13:14], off offset:20 glc dlc
	s_waitcnt vmcnt(0)
	buffer_gl1_inv
	buffer_gl0_inv
	v_and_b32_e32 v0, 1, v0
	s_branch .LBB10_248
.LBB10_253:
	global_load_dwordx2 v[9:10], v[15:16], off
	s_and_saveexec_b32 s12, s4
	s_cbranch_execz .LBB10_257
; %bb.254:
	v_mov_b32_e32 v13, 0
	s_clause 0x2
	global_load_dwordx2 v[0:1], v13, s[6:7] offset:40
	global_load_dwordx2 v[16:17], v13, s[6:7] offset:24 glc dlc
	global_load_dwordx2 v[2:3], v13, s[6:7]
	s_waitcnt vmcnt(2)
	v_readfirstlane_b32 s16, v0
	v_readfirstlane_b32 s17, v1
	s_add_u32 s13, s16, 1
	s_addc_u32 s15, s17, 0
	s_add_u32 s4, s13, s10
	s_addc_u32 s5, s15, s11
	s_cmp_eq_u64 s[4:5], 0
	s_cselect_b32 s5, s15, s5
	s_cselect_b32 s4, s13, s4
	v_mov_b32_e32 v15, s5
	s_and_b64 s[10:11], s[4:5], s[16:17]
	v_mov_b32_e32 v14, s4
	s_mul_i32 s11, s11, 24
	s_mul_hi_u32 s13, s10, 24
	s_mul_i32 s10, s10, 24
	s_add_i32 s13, s13, s11
	s_waitcnt vmcnt(0)
	v_add_co_u32 v11, vcc_lo, v2, s10
	v_add_co_ci_u32_e64 v12, null, s13, v3, vcc_lo
	global_store_dwordx2 v[11:12], v[16:17], off
	s_waitcnt_vscnt null, 0x0
	global_atomic_cmpswap_x2 v[2:3], v13, v[14:17], s[6:7] offset:24 glc
	s_waitcnt vmcnt(0)
	v_cmp_ne_u64_e32 vcc_lo, v[2:3], v[16:17]
	s_and_b32 exec_lo, exec_lo, vcc_lo
	s_cbranch_execz .LBB10_257
; %bb.255:
	s_mov_b32 s10, 0
.LBB10_256:                             ; =>This Inner Loop Header: Depth=1
	v_mov_b32_e32 v0, s4
	v_mov_b32_e32 v1, s5
	s_sleep 1
	global_store_dwordx2 v[11:12], v[2:3], off
	s_waitcnt_vscnt null, 0x0
	global_atomic_cmpswap_x2 v[0:1], v13, v[0:3], s[6:7] offset:24 glc
	s_waitcnt vmcnt(0)
	v_cmp_eq_u64_e32 vcc_lo, v[0:1], v[2:3]
	v_mov_b32_e32 v3, v1
	v_mov_b32_e32 v2, v0
	s_or_b32 s10, vcc_lo, s10
	s_andn2_b32 exec_lo, exec_lo, s10
	s_cbranch_execnz .LBB10_256
.LBB10_257:
	s_or_b32 exec_lo, exec_lo, s12
.LBB10_258:
	s_or_b32 exec_lo, exec_lo, s14
	v_readfirstlane_b32 s4, v37
	v_mov_b32_e32 v13, 0
	v_mov_b32_e32 v14, 0
	v_cmp_eq_u32_e64 s4, s4, v37
	s_and_saveexec_b32 s5, s4
	s_cbranch_execz .LBB10_264
; %bb.259:
	v_mov_b32_e32 v0, 0
	s_mov_b32 s10, exec_lo
	global_load_dwordx2 v[15:16], v0, s[6:7] offset:24 glc dlc
	s_waitcnt vmcnt(0)
	buffer_gl1_inv
	buffer_gl0_inv
	s_clause 0x1
	global_load_dwordx2 v[1:2], v0, s[6:7] offset:40
	global_load_dwordx2 v[11:12], v0, s[6:7]
	s_waitcnt vmcnt(1)
	v_and_b32_e32 v2, v2, v16
	v_and_b32_e32 v1, v1, v15
	v_mul_lo_u32 v2, v2, 24
	v_mul_hi_u32 v3, v1, 24
	v_mul_lo_u32 v1, v1, 24
	v_add_nc_u32_e32 v2, v3, v2
	s_waitcnt vmcnt(0)
	v_add_co_u32 v1, vcc_lo, v11, v1
	v_add_co_ci_u32_e64 v2, null, v12, v2, vcc_lo
	global_load_dwordx2 v[13:14], v[1:2], off glc dlc
	s_waitcnt vmcnt(0)
	global_atomic_cmpswap_x2 v[13:14], v0, v[13:16], s[6:7] offset:24 glc
	s_waitcnt vmcnt(0)
	buffer_gl1_inv
	buffer_gl0_inv
	v_cmpx_ne_u64_e64 v[13:14], v[15:16]
	s_cbranch_execz .LBB10_263
; %bb.260:
	s_mov_b32 s11, 0
	.p2align	6
.LBB10_261:                             ; =>This Inner Loop Header: Depth=1
	s_sleep 1
	s_clause 0x1
	global_load_dwordx2 v[1:2], v0, s[6:7] offset:40
	global_load_dwordx2 v[11:12], v0, s[6:7]
	v_mov_b32_e32 v16, v14
	v_mov_b32_e32 v15, v13
	s_waitcnt vmcnt(1)
	v_and_b32_e32 v1, v1, v15
	v_and_b32_e32 v2, v2, v16
	s_waitcnt vmcnt(0)
	v_mad_u64_u32 v[11:12], null, v1, 24, v[11:12]
	v_mov_b32_e32 v1, v12
	v_mad_u64_u32 v[1:2], null, v2, 24, v[1:2]
	v_mov_b32_e32 v12, v1
	global_load_dwordx2 v[13:14], v[11:12], off glc dlc
	s_waitcnt vmcnt(0)
	global_atomic_cmpswap_x2 v[13:14], v0, v[13:16], s[6:7] offset:24 glc
	s_waitcnt vmcnt(0)
	buffer_gl1_inv
	buffer_gl0_inv
	v_cmp_eq_u64_e32 vcc_lo, v[13:14], v[15:16]
	s_or_b32 s11, vcc_lo, s11
	s_andn2_b32 exec_lo, exec_lo, s11
	s_cbranch_execnz .LBB10_261
; %bb.262:
	s_or_b32 exec_lo, exec_lo, s11
.LBB10_263:
	s_or_b32 exec_lo, exec_lo, s10
.LBB10_264:
	s_or_b32 exec_lo, exec_lo, s5
	v_mov_b32_e32 v12, 0
	v_readfirstlane_b32 s11, v14
	v_readfirstlane_b32 s10, v13
	s_mov_b32 s5, exec_lo
	s_clause 0x1
	global_load_dwordx2 v[15:16], v12, s[6:7] offset:40
	global_load_dwordx4 v[0:3], v12, s[6:7]
	s_waitcnt vmcnt(1)
	v_readfirstlane_b32 s12, v15
	v_readfirstlane_b32 s13, v16
	s_and_b64 s[12:13], s[12:13], s[10:11]
	s_mul_i32 s14, s13, 24
	s_mul_hi_u32 s15, s12, 24
	s_mul_i32 s16, s12, 24
	s_add_i32 s15, s15, s14
	s_waitcnt vmcnt(0)
	v_add_co_u32 v13, vcc_lo, v0, s16
	v_add_co_ci_u32_e64 v14, null, s15, v1, vcc_lo
	s_and_saveexec_b32 s14, s4
	s_cbranch_execz .LBB10_266
; %bb.265:
	v_mov_b32_e32 v11, s5
	v_mov_b32_e32 v16, v12
	;; [unrolled: 1-line block ×5, first 2 shown]
	global_store_dwordx4 v[13:14], v[15:18], off offset:8
.LBB10_266:
	s_or_b32 exec_lo, exec_lo, s14
	s_lshl_b64 s[12:13], s[12:13], 12
	v_and_or_b32 v9, 0xffffff1f, v9, 32
	v_add_co_u32 v2, vcc_lo, v2, s12
	v_add_co_ci_u32_e64 v3, null, s13, v3, vcc_lo
	s_mov_b32 s12, 0
	v_add_co_u32 v15, vcc_lo, v2, v38
	s_mov_b32 s15, s12
	s_mov_b32 s13, s12
	;; [unrolled: 1-line block ×3, first 2 shown]
	v_mov_b32_e32 v11, v4
	v_readfirstlane_b32 s16, v2
	v_readfirstlane_b32 s17, v3
	v_mov_b32_e32 v20, s15
	v_add_co_ci_u32_e64 v16, null, 0, v3, vcc_lo
	v_mov_b32_e32 v19, s14
	v_mov_b32_e32 v18, s13
	;; [unrolled: 1-line block ×3, first 2 shown]
	global_store_dwordx4 v38, v[9:12], s[16:17]
	global_store_dwordx4 v38, v[17:20], s[16:17] offset:16
	global_store_dwordx4 v38, v[17:20], s[16:17] offset:32
	;; [unrolled: 1-line block ×3, first 2 shown]
	s_and_saveexec_b32 s5, s4
	s_cbranch_execz .LBB10_274
; %bb.267:
	v_mov_b32_e32 v4, 0
	v_mov_b32_e32 v17, s10
	;; [unrolled: 1-line block ×3, first 2 shown]
	s_clause 0x1
	global_load_dwordx2 v[19:20], v4, s[6:7] offset:32 glc dlc
	global_load_dwordx2 v[2:3], v4, s[6:7] offset:40
	s_waitcnt vmcnt(0)
	v_readfirstlane_b32 s12, v2
	v_readfirstlane_b32 s13, v3
	s_and_b64 s[12:13], s[12:13], s[10:11]
	s_mul_i32 s13, s13, 24
	s_mul_hi_u32 s14, s12, 24
	s_mul_i32 s12, s12, 24
	s_add_i32 s14, s14, s13
	v_add_co_u32 v9, vcc_lo, v0, s12
	v_add_co_ci_u32_e64 v10, null, s14, v1, vcc_lo
	s_mov_b32 s12, exec_lo
	global_store_dwordx2 v[9:10], v[19:20], off
	s_waitcnt_vscnt null, 0x0
	global_atomic_cmpswap_x2 v[2:3], v4, v[17:20], s[6:7] offset:32 glc
	s_waitcnt vmcnt(0)
	v_cmpx_ne_u64_e64 v[2:3], v[19:20]
	s_cbranch_execz .LBB10_270
; %bb.268:
	s_mov_b32 s13, 0
.LBB10_269:                             ; =>This Inner Loop Header: Depth=1
	v_mov_b32_e32 v0, s10
	v_mov_b32_e32 v1, s11
	s_sleep 1
	global_store_dwordx2 v[9:10], v[2:3], off
	s_waitcnt_vscnt null, 0x0
	global_atomic_cmpswap_x2 v[0:1], v4, v[0:3], s[6:7] offset:32 glc
	s_waitcnt vmcnt(0)
	v_cmp_eq_u64_e32 vcc_lo, v[0:1], v[2:3]
	v_mov_b32_e32 v3, v1
	v_mov_b32_e32 v2, v0
	s_or_b32 s13, vcc_lo, s13
	s_andn2_b32 exec_lo, exec_lo, s13
	s_cbranch_execnz .LBB10_269
.LBB10_270:
	s_or_b32 exec_lo, exec_lo, s12
	v_mov_b32_e32 v3, 0
	s_mov_b32 s13, exec_lo
	s_mov_b32 s12, exec_lo
	v_mbcnt_lo_u32_b32 v2, s13, 0
	global_load_dwordx2 v[0:1], v3, s[6:7] offset:16
	v_cmpx_eq_u32_e32 0, v2
	s_cbranch_execz .LBB10_272
; %bb.271:
	s_bcnt1_i32_b32 s13, s13
	v_mov_b32_e32 v2, s13
	s_waitcnt vmcnt(0)
	global_atomic_add_x2 v[0:1], v[2:3], off offset:8
.LBB10_272:
	s_or_b32 exec_lo, exec_lo, s12
	s_waitcnt vmcnt(0)
	global_load_dwordx2 v[2:3], v[0:1], off offset:16
	s_waitcnt vmcnt(0)
	v_cmp_eq_u64_e32 vcc_lo, 0, v[2:3]
	s_cbranch_vccnz .LBB10_274
; %bb.273:
	global_load_dword v0, v[0:1], off offset:24
	v_mov_b32_e32 v1, 0
	s_waitcnt vmcnt(0)
	v_readfirstlane_b32 s12, v0
	s_waitcnt_vscnt null, 0x0
	global_store_dwordx2 v[2:3], v[0:1], off
	s_and_b32 m0, s12, 0x7fffff
	s_sendmsg sendmsg(MSG_INTERRUPT)
.LBB10_274:
	s_or_b32 exec_lo, exec_lo, s5
	s_branch .LBB10_278
	.p2align	6
.LBB10_275:                             ;   in Loop: Header=BB10_278 Depth=1
	s_or_b32 exec_lo, exec_lo, s5
	v_readfirstlane_b32 s5, v0
	s_cmp_eq_u32 s5, 0
	s_cbranch_scc1 .LBB10_277
; %bb.276:                              ;   in Loop: Header=BB10_278 Depth=1
	s_sleep 1
	s_cbranch_execnz .LBB10_278
	s_branch .LBB10_280
	.p2align	6
.LBB10_277:
	s_branch .LBB10_280
.LBB10_278:                             ; =>This Inner Loop Header: Depth=1
	v_mov_b32_e32 v0, 1
	s_and_saveexec_b32 s5, s4
	s_cbranch_execz .LBB10_275
; %bb.279:                              ;   in Loop: Header=BB10_278 Depth=1
	global_load_dword v0, v[13:14], off offset:20 glc dlc
	s_waitcnt vmcnt(0)
	buffer_gl1_inv
	buffer_gl0_inv
	v_and_b32_e32 v0, 1, v0
	s_branch .LBB10_275
.LBB10_280:
	global_load_dwordx2 v[0:1], v[15:16], off
	s_and_saveexec_b32 s12, s4
	s_cbranch_execz .LBB10_284
; %bb.281:
	v_mov_b32_e32 v4, 0
	s_clause 0x2
	global_load_dwordx2 v[2:3], v4, s[6:7] offset:40
	global_load_dwordx2 v[13:14], v4, s[6:7] offset:24 glc dlc
	global_load_dwordx2 v[9:10], v4, s[6:7]
	s_waitcnt vmcnt(2)
	v_readfirstlane_b32 s14, v2
	v_readfirstlane_b32 s15, v3
	s_add_u32 s13, s14, 1
	s_addc_u32 s16, s15, 0
	s_add_u32 s4, s13, s10
	s_addc_u32 s5, s16, s11
	s_cmp_eq_u64 s[4:5], 0
	s_cselect_b32 s5, s16, s5
	s_cselect_b32 s4, s13, s4
	v_mov_b32_e32 v12, s5
	s_and_b64 s[10:11], s[4:5], s[14:15]
	v_mov_b32_e32 v11, s4
	s_mul_i32 s11, s11, 24
	s_mul_hi_u32 s13, s10, 24
	s_mul_i32 s10, s10, 24
	s_add_i32 s13, s13, s11
	s_waitcnt vmcnt(0)
	v_add_co_u32 v2, vcc_lo, v9, s10
	v_add_co_ci_u32_e64 v3, null, s13, v10, vcc_lo
	global_store_dwordx2 v[2:3], v[13:14], off
	s_waitcnt_vscnt null, 0x0
	global_atomic_cmpswap_x2 v[11:12], v4, v[11:14], s[6:7] offset:24 glc
	s_waitcnt vmcnt(0)
	v_cmp_ne_u64_e32 vcc_lo, v[11:12], v[13:14]
	s_and_b32 exec_lo, exec_lo, vcc_lo
	s_cbranch_execz .LBB10_284
; %bb.282:
	s_mov_b32 s10, 0
.LBB10_283:                             ; =>This Inner Loop Header: Depth=1
	v_mov_b32_e32 v9, s4
	v_mov_b32_e32 v10, s5
	s_sleep 1
	global_store_dwordx2 v[2:3], v[11:12], off
	s_waitcnt_vscnt null, 0x0
	global_atomic_cmpswap_x2 v[9:10], v4, v[9:12], s[6:7] offset:24 glc
	s_waitcnt vmcnt(0)
	v_cmp_eq_u64_e32 vcc_lo, v[9:10], v[11:12]
	v_mov_b32_e32 v12, v10
	v_mov_b32_e32 v11, v9
	s_or_b32 s10, vcc_lo, s10
	s_andn2_b32 exec_lo, exec_lo, s10
	s_cbranch_execnz .LBB10_283
.LBB10_284:
	s_or_b32 exec_lo, exec_lo, s12
	v_mov_b32_e32 v3, v5
	v_mov_b32_e32 v4, v6
	s_mov_b32 s4, 0
.LBB10_285:                             ; =>This Inner Loop Header: Depth=1
	global_load_ubyte v9, v[3:4], off
	v_add_co_u32 v2, vcc_lo, v3, 1
	v_add_co_ci_u32_e64 v3, null, 0, v4, vcc_lo
	v_mov_b32_e32 v4, v3
	v_mov_b32_e32 v3, v2
	s_waitcnt vmcnt(0)
	v_cmp_eq_u16_e32 vcc_lo, 0, v9
	s_or_b32 s4, vcc_lo, s4
	s_andn2_b32 exec_lo, exec_lo, s4
	s_cbranch_execnz .LBB10_285
; %bb.286:
	s_or_b32 exec_lo, exec_lo, s4
	s_mov_b32 s4, exec_lo
	v_cmpx_ne_u64_e32 0, v[5:6]
	s_xor_b32 s14, exec_lo, s4
	s_cbranch_execz .LBB10_372
; %bb.287:
	v_sub_nc_u32_e32 v29, v2, v5
	v_and_b32_e32 v4, 2, v0
	v_mov_b32_e32 v10, 0
	v_and_b32_e32 v0, -3, v0
	v_mov_b32_e32 v11, 2
	v_ashrrev_i32_e32 v30, 31, v29
	v_mov_b32_e32 v12, 1
	s_mov_b32 s16, 0
	s_mov_b32 s15, 0
	s_branch .LBB10_289
.LBB10_288:                             ;   in Loop: Header=BB10_289 Depth=1
	s_or_b32 exec_lo, exec_lo, s12
	v_sub_co_u32 v29, vcc_lo, v29, v31
	v_sub_co_ci_u32_e64 v30, null, v30, v32, vcc_lo
	v_add_co_u32 v5, s4, v5, v31
	v_add_co_ci_u32_e64 v6, null, v6, v32, s4
	v_cmp_eq_u64_e32 vcc_lo, 0, v[29:30]
	s_or_b32 s15, vcc_lo, s15
	s_andn2_b32 exec_lo, exec_lo, s15
	s_cbranch_execz .LBB10_371
.LBB10_289:                             ; =>This Loop Header: Depth=1
                                        ;     Child Loop BB10_292 Depth 2
                                        ;     Child Loop BB10_300 Depth 2
	;; [unrolled: 1-line block ×11, first 2 shown]
	v_cmp_gt_u64_e32 vcc_lo, 56, v[29:30]
	s_mov_b32 s5, exec_lo
	v_cndmask_b32_e32 v32, 0, v30, vcc_lo
	v_cndmask_b32_e32 v31, 56, v29, vcc_lo
	v_add_co_u32 v15, vcc_lo, v5, 8
	v_add_co_ci_u32_e64 v16, null, 0, v6, vcc_lo
	v_cmpx_gt_u64_e32 8, v[29:30]
	s_xor_b32 s5, exec_lo, s5
	s_cbranch_execz .LBB10_295
; %bb.290:                              ;   in Loop: Header=BB10_289 Depth=1
	v_mov_b32_e32 v2, 0
	v_mov_b32_e32 v3, 0
	s_mov_b32 s12, exec_lo
	v_cmpx_ne_u64_e32 0, v[29:30]
	s_cbranch_execz .LBB10_294
; %bb.291:                              ;   in Loop: Header=BB10_289 Depth=1
	v_lshlrev_b64 v[13:14], 3, v[31:32]
	v_mov_b32_e32 v2, 0
	v_mov_b32_e32 v15, v6
	;; [unrolled: 1-line block ×4, first 2 shown]
	s_mov_b64 s[10:11], 0
	s_mov_b32 s13, 0
	.p2align	6
.LBB10_292:                             ;   Parent Loop BB10_289 Depth=1
                                        ; =>  This Inner Loop Header: Depth=2
	global_load_ubyte v9, v[14:15], off
	v_mov_b32_e32 v17, s16
	v_add_co_u32 v14, vcc_lo, v14, 1
	v_add_co_ci_u32_e64 v15, null, 0, v15, vcc_lo
	s_waitcnt vmcnt(0)
	v_and_b32_e32 v16, 0xffff, v9
	v_lshlrev_b64 v[16:17], s10, v[16:17]
	s_add_u32 s10, s10, 8
	s_addc_u32 s11, s11, 0
	v_cmp_eq_u32_e64 s4, s10, v13
	v_or_b32_e32 v3, v17, v3
	v_or_b32_e32 v2, v16, v2
	s_or_b32 s13, s4, s13
	s_andn2_b32 exec_lo, exec_lo, s13
	s_cbranch_execnz .LBB10_292
; %bb.293:                              ;   in Loop: Header=BB10_289 Depth=1
	s_or_b32 exec_lo, exec_lo, s13
.LBB10_294:                             ;   in Loop: Header=BB10_289 Depth=1
	s_or_b32 exec_lo, exec_lo, s12
	v_mov_b32_e32 v16, v6
	v_mov_b32_e32 v15, v5
.LBB10_295:                             ;   in Loop: Header=BB10_289 Depth=1
	s_or_saveexec_b32 s4, s5
	v_mov_b32_e32 v9, 0
	s_xor_b32 exec_lo, exec_lo, s4
	s_cbranch_execz .LBB10_297
; %bb.296:                              ;   in Loop: Header=BB10_289 Depth=1
	global_load_dwordx2 v[2:3], v[5:6], off
	v_add_nc_u32_e32 v9, -8, v31
.LBB10_297:                             ;   in Loop: Header=BB10_289 Depth=1
	s_or_b32 exec_lo, exec_lo, s4
	v_add_co_u32 v17, s4, v15, 8
	v_add_co_ci_u32_e64 v18, null, 0, v16, s4
                                        ; implicit-def: $vgpr13_vgpr14
	s_mov_b32 s4, exec_lo
	v_cmpx_gt_u32_e32 8, v9
	s_xor_b32 s12, exec_lo, s4
	s_cbranch_execz .LBB10_303
; %bb.298:                              ;   in Loop: Header=BB10_289 Depth=1
	v_mov_b32_e32 v13, 0
	v_mov_b32_e32 v14, 0
	s_mov_b32 s13, exec_lo
	v_cmpx_ne_u32_e32 0, v9
	s_cbranch_execz .LBB10_302
; %bb.299:                              ;   in Loop: Header=BB10_289 Depth=1
	v_mov_b32_e32 v13, 0
	v_mov_b32_e32 v14, 0
	s_mov_b64 s[4:5], 0
	s_mov_b32 s17, 0
	s_mov_b64 s[10:11], 0
	.p2align	6
.LBB10_300:                             ;   Parent Loop BB10_289 Depth=1
                                        ; =>  This Inner Loop Header: Depth=2
	v_add_co_u32 v17, vcc_lo, v15, s10
	v_add_co_ci_u32_e64 v18, null, s11, v16, vcc_lo
	s_add_u32 s10, s10, 1
	s_addc_u32 s11, s11, 0
	v_cmp_eq_u32_e32 vcc_lo, s10, v9
	global_load_ubyte v17, v[17:18], off
	v_mov_b32_e32 v18, s16
	s_waitcnt vmcnt(0)
	v_and_b32_e32 v17, 0xffff, v17
	v_lshlrev_b64 v[17:18], s4, v[17:18]
	s_add_u32 s4, s4, 8
	s_addc_u32 s5, s5, 0
	s_or_b32 s17, vcc_lo, s17
	v_or_b32_e32 v14, v18, v14
	v_or_b32_e32 v13, v17, v13
	s_andn2_b32 exec_lo, exec_lo, s17
	s_cbranch_execnz .LBB10_300
; %bb.301:                              ;   in Loop: Header=BB10_289 Depth=1
	s_or_b32 exec_lo, exec_lo, s17
.LBB10_302:                             ;   in Loop: Header=BB10_289 Depth=1
	s_or_b32 exec_lo, exec_lo, s13
	v_mov_b32_e32 v18, v16
	v_mov_b32_e32 v17, v15
                                        ; implicit-def: $vgpr9
.LBB10_303:                             ;   in Loop: Header=BB10_289 Depth=1
	s_or_saveexec_b32 s4, s12
	v_mov_b32_e32 v21, 0
	s_xor_b32 exec_lo, exec_lo, s4
	s_cbranch_execz .LBB10_305
; %bb.304:                              ;   in Loop: Header=BB10_289 Depth=1
	global_load_dwordx2 v[13:14], v[15:16], off
	v_add_nc_u32_e32 v21, -8, v9
.LBB10_305:                             ;   in Loop: Header=BB10_289 Depth=1
	s_or_b32 exec_lo, exec_lo, s4
	v_add_co_u32 v19, s4, v17, 8
	v_add_co_ci_u32_e64 v20, null, 0, v18, s4
	s_mov_b32 s4, exec_lo
	v_cmpx_gt_u32_e32 8, v21
	s_xor_b32 s12, exec_lo, s4
	s_cbranch_execz .LBB10_311
; %bb.306:                              ;   in Loop: Header=BB10_289 Depth=1
	v_mov_b32_e32 v15, 0
	v_mov_b32_e32 v16, 0
	s_mov_b32 s13, exec_lo
	v_cmpx_ne_u32_e32 0, v21
	s_cbranch_execz .LBB10_310
; %bb.307:                              ;   in Loop: Header=BB10_289 Depth=1
	v_mov_b32_e32 v15, 0
	v_mov_b32_e32 v16, 0
	s_mov_b64 s[4:5], 0
	s_mov_b32 s17, 0
	s_mov_b64 s[10:11], 0
	.p2align	6
.LBB10_308:                             ;   Parent Loop BB10_289 Depth=1
                                        ; =>  This Inner Loop Header: Depth=2
	v_add_co_u32 v19, vcc_lo, v17, s10
	v_add_co_ci_u32_e64 v20, null, s11, v18, vcc_lo
	s_add_u32 s10, s10, 1
	s_addc_u32 s11, s11, 0
	v_cmp_eq_u32_e32 vcc_lo, s10, v21
	global_load_ubyte v9, v[19:20], off
	v_mov_b32_e32 v20, s16
	s_waitcnt vmcnt(0)
	v_and_b32_e32 v19, 0xffff, v9
	v_lshlrev_b64 v[19:20], s4, v[19:20]
	s_add_u32 s4, s4, 8
	s_addc_u32 s5, s5, 0
	s_or_b32 s17, vcc_lo, s17
	v_or_b32_e32 v16, v20, v16
	v_or_b32_e32 v15, v19, v15
	s_andn2_b32 exec_lo, exec_lo, s17
	s_cbranch_execnz .LBB10_308
; %bb.309:                              ;   in Loop: Header=BB10_289 Depth=1
	s_or_b32 exec_lo, exec_lo, s17
.LBB10_310:                             ;   in Loop: Header=BB10_289 Depth=1
	s_or_b32 exec_lo, exec_lo, s13
	v_mov_b32_e32 v20, v18
	v_mov_b32_e32 v19, v17
                                        ; implicit-def: $vgpr21
.LBB10_311:                             ;   in Loop: Header=BB10_289 Depth=1
	s_or_saveexec_b32 s4, s12
	v_mov_b32_e32 v9, 0
	s_xor_b32 exec_lo, exec_lo, s4
	s_cbranch_execz .LBB10_313
; %bb.312:                              ;   in Loop: Header=BB10_289 Depth=1
	global_load_dwordx2 v[15:16], v[17:18], off
	v_add_nc_u32_e32 v9, -8, v21
.LBB10_313:                             ;   in Loop: Header=BB10_289 Depth=1
	s_or_b32 exec_lo, exec_lo, s4
	v_add_co_u32 v21, s4, v19, 8
	v_add_co_ci_u32_e64 v22, null, 0, v20, s4
                                        ; implicit-def: $vgpr17_vgpr18
	s_mov_b32 s4, exec_lo
	v_cmpx_gt_u32_e32 8, v9
	s_xor_b32 s12, exec_lo, s4
	s_cbranch_execz .LBB10_319
; %bb.314:                              ;   in Loop: Header=BB10_289 Depth=1
	v_mov_b32_e32 v17, 0
	v_mov_b32_e32 v18, 0
	s_mov_b32 s13, exec_lo
	v_cmpx_ne_u32_e32 0, v9
	s_cbranch_execz .LBB10_318
; %bb.315:                              ;   in Loop: Header=BB10_289 Depth=1
	v_mov_b32_e32 v17, 0
	v_mov_b32_e32 v18, 0
	s_mov_b64 s[4:5], 0
	s_mov_b32 s17, 0
	s_mov_b64 s[10:11], 0
	.p2align	6
.LBB10_316:                             ;   Parent Loop BB10_289 Depth=1
                                        ; =>  This Inner Loop Header: Depth=2
	v_add_co_u32 v21, vcc_lo, v19, s10
	v_add_co_ci_u32_e64 v22, null, s11, v20, vcc_lo
	s_add_u32 s10, s10, 1
	s_addc_u32 s11, s11, 0
	v_cmp_eq_u32_e32 vcc_lo, s10, v9
	global_load_ubyte v21, v[21:22], off
	v_mov_b32_e32 v22, s16
	s_waitcnt vmcnt(0)
	v_and_b32_e32 v21, 0xffff, v21
	v_lshlrev_b64 v[21:22], s4, v[21:22]
	s_add_u32 s4, s4, 8
	s_addc_u32 s5, s5, 0
	s_or_b32 s17, vcc_lo, s17
	v_or_b32_e32 v18, v22, v18
	v_or_b32_e32 v17, v21, v17
	s_andn2_b32 exec_lo, exec_lo, s17
	s_cbranch_execnz .LBB10_316
; %bb.317:                              ;   in Loop: Header=BB10_289 Depth=1
	s_or_b32 exec_lo, exec_lo, s17
.LBB10_318:                             ;   in Loop: Header=BB10_289 Depth=1
	s_or_b32 exec_lo, exec_lo, s13
	v_mov_b32_e32 v22, v20
	v_mov_b32_e32 v21, v19
                                        ; implicit-def: $vgpr9
.LBB10_319:                             ;   in Loop: Header=BB10_289 Depth=1
	s_or_saveexec_b32 s4, s12
	v_mov_b32_e32 v25, 0
	s_xor_b32 exec_lo, exec_lo, s4
	s_cbranch_execz .LBB10_321
; %bb.320:                              ;   in Loop: Header=BB10_289 Depth=1
	global_load_dwordx2 v[17:18], v[19:20], off
	v_add_nc_u32_e32 v25, -8, v9
.LBB10_321:                             ;   in Loop: Header=BB10_289 Depth=1
	s_or_b32 exec_lo, exec_lo, s4
	v_add_co_u32 v23, s4, v21, 8
	v_add_co_ci_u32_e64 v24, null, 0, v22, s4
	s_mov_b32 s4, exec_lo
	v_cmpx_gt_u32_e32 8, v25
	s_xor_b32 s12, exec_lo, s4
	s_cbranch_execz .LBB10_327
; %bb.322:                              ;   in Loop: Header=BB10_289 Depth=1
	v_mov_b32_e32 v19, 0
	v_mov_b32_e32 v20, 0
	s_mov_b32 s13, exec_lo
	v_cmpx_ne_u32_e32 0, v25
	s_cbranch_execz .LBB10_326
; %bb.323:                              ;   in Loop: Header=BB10_289 Depth=1
	v_mov_b32_e32 v19, 0
	v_mov_b32_e32 v20, 0
	s_mov_b64 s[4:5], 0
	s_mov_b32 s17, 0
	s_mov_b64 s[10:11], 0
	.p2align	6
.LBB10_324:                             ;   Parent Loop BB10_289 Depth=1
                                        ; =>  This Inner Loop Header: Depth=2
	v_add_co_u32 v23, vcc_lo, v21, s10
	v_add_co_ci_u32_e64 v24, null, s11, v22, vcc_lo
	s_add_u32 s10, s10, 1
	s_addc_u32 s11, s11, 0
	v_cmp_eq_u32_e32 vcc_lo, s10, v25
	global_load_ubyte v9, v[23:24], off
	v_mov_b32_e32 v24, s16
	s_waitcnt vmcnt(0)
	v_and_b32_e32 v23, 0xffff, v9
	v_lshlrev_b64 v[23:24], s4, v[23:24]
	s_add_u32 s4, s4, 8
	s_addc_u32 s5, s5, 0
	s_or_b32 s17, vcc_lo, s17
	v_or_b32_e32 v20, v24, v20
	v_or_b32_e32 v19, v23, v19
	s_andn2_b32 exec_lo, exec_lo, s17
	s_cbranch_execnz .LBB10_324
; %bb.325:                              ;   in Loop: Header=BB10_289 Depth=1
	s_or_b32 exec_lo, exec_lo, s17
.LBB10_326:                             ;   in Loop: Header=BB10_289 Depth=1
	s_or_b32 exec_lo, exec_lo, s13
	v_mov_b32_e32 v24, v22
	v_mov_b32_e32 v23, v21
                                        ; implicit-def: $vgpr25
.LBB10_327:                             ;   in Loop: Header=BB10_289 Depth=1
	s_or_saveexec_b32 s4, s12
	v_mov_b32_e32 v9, 0
	s_xor_b32 exec_lo, exec_lo, s4
	s_cbranch_execz .LBB10_329
; %bb.328:                              ;   in Loop: Header=BB10_289 Depth=1
	global_load_dwordx2 v[19:20], v[21:22], off
	v_add_nc_u32_e32 v9, -8, v25
.LBB10_329:                             ;   in Loop: Header=BB10_289 Depth=1
	s_or_b32 exec_lo, exec_lo, s4
	v_add_co_u32 v25, s4, v23, 8
	v_add_co_ci_u32_e64 v26, null, 0, v24, s4
                                        ; implicit-def: $vgpr21_vgpr22
	s_mov_b32 s4, exec_lo
	v_cmpx_gt_u32_e32 8, v9
	s_xor_b32 s12, exec_lo, s4
	s_cbranch_execz .LBB10_335
; %bb.330:                              ;   in Loop: Header=BB10_289 Depth=1
	v_mov_b32_e32 v21, 0
	v_mov_b32_e32 v22, 0
	s_mov_b32 s13, exec_lo
	v_cmpx_ne_u32_e32 0, v9
	s_cbranch_execz .LBB10_334
; %bb.331:                              ;   in Loop: Header=BB10_289 Depth=1
	v_mov_b32_e32 v21, 0
	v_mov_b32_e32 v22, 0
	s_mov_b64 s[4:5], 0
	s_mov_b32 s17, 0
	s_mov_b64 s[10:11], 0
	.p2align	6
.LBB10_332:                             ;   Parent Loop BB10_289 Depth=1
                                        ; =>  This Inner Loop Header: Depth=2
	v_add_co_u32 v25, vcc_lo, v23, s10
	v_add_co_ci_u32_e64 v26, null, s11, v24, vcc_lo
	s_add_u32 s10, s10, 1
	s_addc_u32 s11, s11, 0
	v_cmp_eq_u32_e32 vcc_lo, s10, v9
	global_load_ubyte v25, v[25:26], off
	v_mov_b32_e32 v26, s16
	s_waitcnt vmcnt(0)
	v_and_b32_e32 v25, 0xffff, v25
	v_lshlrev_b64 v[25:26], s4, v[25:26]
	s_add_u32 s4, s4, 8
	s_addc_u32 s5, s5, 0
	s_or_b32 s17, vcc_lo, s17
	v_or_b32_e32 v22, v26, v22
	v_or_b32_e32 v21, v25, v21
	s_andn2_b32 exec_lo, exec_lo, s17
	s_cbranch_execnz .LBB10_332
; %bb.333:                              ;   in Loop: Header=BB10_289 Depth=1
	s_or_b32 exec_lo, exec_lo, s17
.LBB10_334:                             ;   in Loop: Header=BB10_289 Depth=1
	s_or_b32 exec_lo, exec_lo, s13
	v_mov_b32_e32 v26, v24
	v_mov_b32_e32 v25, v23
                                        ; implicit-def: $vgpr9
.LBB10_335:                             ;   in Loop: Header=BB10_289 Depth=1
	s_or_saveexec_b32 s4, s12
	v_mov_b32_e32 v27, 0
	s_xor_b32 exec_lo, exec_lo, s4
	s_cbranch_execz .LBB10_337
; %bb.336:                              ;   in Loop: Header=BB10_289 Depth=1
	global_load_dwordx2 v[21:22], v[23:24], off
	v_add_nc_u32_e32 v27, -8, v9
.LBB10_337:                             ;   in Loop: Header=BB10_289 Depth=1
	s_or_b32 exec_lo, exec_lo, s4
	s_mov_b32 s4, exec_lo
	v_cmpx_gt_u32_e32 8, v27
	s_xor_b32 s10, exec_lo, s4
	s_cbranch_execz .LBB10_343
; %bb.338:                              ;   in Loop: Header=BB10_289 Depth=1
	v_mov_b32_e32 v23, 0
	v_mov_b32_e32 v24, 0
	s_mov_b32 s11, exec_lo
	v_cmpx_ne_u32_e32 0, v27
	s_cbranch_execz .LBB10_342
; %bb.339:                              ;   in Loop: Header=BB10_289 Depth=1
	v_mov_b32_e32 v23, 0
	v_mov_b32_e32 v24, 0
	s_mov_b64 s[4:5], 0
	s_mov_b32 s12, 0
	.p2align	6
.LBB10_340:                             ;   Parent Loop BB10_289 Depth=1
                                        ; =>  This Inner Loop Header: Depth=2
	global_load_ubyte v9, v[25:26], off
	v_mov_b32_e32 v34, s16
	v_add_nc_u32_e32 v27, -1, v27
	v_add_co_u32 v25, vcc_lo, v25, 1
	v_add_co_ci_u32_e64 v26, null, 0, v26, vcc_lo
	v_cmp_eq_u32_e32 vcc_lo, 0, v27
	s_waitcnt vmcnt(0)
	v_and_b32_e32 v33, 0xffff, v9
	v_lshlrev_b64 v[33:34], s4, v[33:34]
	s_add_u32 s4, s4, 8
	s_addc_u32 s5, s5, 0
	s_or_b32 s12, vcc_lo, s12
	v_or_b32_e32 v24, v34, v24
	v_or_b32_e32 v23, v33, v23
	s_andn2_b32 exec_lo, exec_lo, s12
	s_cbranch_execnz .LBB10_340
; %bb.341:                              ;   in Loop: Header=BB10_289 Depth=1
	s_or_b32 exec_lo, exec_lo, s12
.LBB10_342:                             ;   in Loop: Header=BB10_289 Depth=1
	s_or_b32 exec_lo, exec_lo, s11
                                        ; implicit-def: $vgpr25_vgpr26
.LBB10_343:                             ;   in Loop: Header=BB10_289 Depth=1
	s_andn2_saveexec_b32 s4, s10
	s_cbranch_execz .LBB10_345
; %bb.344:                              ;   in Loop: Header=BB10_289 Depth=1
	global_load_dwordx2 v[23:24], v[25:26], off
.LBB10_345:                             ;   in Loop: Header=BB10_289 Depth=1
	s_or_b32 exec_lo, exec_lo, s4
	v_readfirstlane_b32 s4, v37
	v_mov_b32_e32 v33, 0
	v_mov_b32_e32 v34, 0
	v_cmp_eq_u32_e64 s4, s4, v37
	s_and_saveexec_b32 s5, s4
	s_cbranch_execz .LBB10_351
; %bb.346:                              ;   in Loop: Header=BB10_289 Depth=1
	global_load_dwordx2 v[27:28], v10, s[6:7] offset:24 glc dlc
	s_waitcnt vmcnt(0)
	buffer_gl1_inv
	buffer_gl0_inv
	s_clause 0x1
	global_load_dwordx2 v[25:26], v10, s[6:7] offset:40
	global_load_dwordx2 v[33:34], v10, s[6:7]
	s_mov_b32 s10, exec_lo
	s_waitcnt vmcnt(1)
	v_and_b32_e32 v9, v26, v28
	v_and_b32_e32 v25, v25, v27
	v_mul_lo_u32 v9, v9, 24
	v_mul_hi_u32 v26, v25, 24
	v_mul_lo_u32 v25, v25, 24
	v_add_nc_u32_e32 v9, v26, v9
	s_waitcnt vmcnt(0)
	v_add_co_u32 v25, vcc_lo, v33, v25
	v_add_co_ci_u32_e64 v26, null, v34, v9, vcc_lo
	global_load_dwordx2 v[25:26], v[25:26], off glc dlc
	s_waitcnt vmcnt(0)
	global_atomic_cmpswap_x2 v[33:34], v10, v[25:28], s[6:7] offset:24 glc
	s_waitcnt vmcnt(0)
	buffer_gl1_inv
	buffer_gl0_inv
	v_cmpx_ne_u64_e64 v[33:34], v[27:28]
	s_cbranch_execz .LBB10_350
; %bb.347:                              ;   in Loop: Header=BB10_289 Depth=1
	s_mov_b32 s11, 0
	.p2align	6
.LBB10_348:                             ;   Parent Loop BB10_289 Depth=1
                                        ; =>  This Inner Loop Header: Depth=2
	s_sleep 1
	s_clause 0x1
	global_load_dwordx2 v[25:26], v10, s[6:7] offset:40
	global_load_dwordx2 v[35:36], v10, s[6:7]
	v_mov_b32_e32 v27, v33
	v_mov_b32_e32 v28, v34
	s_waitcnt vmcnt(1)
	v_and_b32_e32 v9, v25, v27
	v_and_b32_e32 v25, v26, v28
	s_waitcnt vmcnt(0)
	v_mad_u64_u32 v[33:34], null, v9, 24, v[35:36]
	v_mov_b32_e32 v9, v34
	v_mad_u64_u32 v[25:26], null, v25, 24, v[9:10]
	v_mov_b32_e32 v34, v25
	global_load_dwordx2 v[25:26], v[33:34], off glc dlc
	s_waitcnt vmcnt(0)
	global_atomic_cmpswap_x2 v[33:34], v10, v[25:28], s[6:7] offset:24 glc
	s_waitcnt vmcnt(0)
	buffer_gl1_inv
	buffer_gl0_inv
	v_cmp_eq_u64_e32 vcc_lo, v[33:34], v[27:28]
	s_or_b32 s11, vcc_lo, s11
	s_andn2_b32 exec_lo, exec_lo, s11
	s_cbranch_execnz .LBB10_348
; %bb.349:                              ;   in Loop: Header=BB10_289 Depth=1
	s_or_b32 exec_lo, exec_lo, s11
.LBB10_350:                             ;   in Loop: Header=BB10_289 Depth=1
	s_or_b32 exec_lo, exec_lo, s10
.LBB10_351:                             ;   in Loop: Header=BB10_289 Depth=1
	s_or_b32 exec_lo, exec_lo, s5
	s_clause 0x1
	global_load_dwordx2 v[35:36], v10, s[6:7] offset:40
	global_load_dwordx4 v[25:28], v10, s[6:7]
	v_readfirstlane_b32 s11, v34
	v_readfirstlane_b32 s10, v33
	s_mov_b32 s5, exec_lo
	s_waitcnt vmcnt(1)
	v_readfirstlane_b32 s12, v35
	v_readfirstlane_b32 s13, v36
	s_and_b64 s[12:13], s[12:13], s[10:11]
	s_mul_i32 s17, s13, 24
	s_mul_hi_u32 s18, s12, 24
	s_mul_i32 s19, s12, 24
	s_add_i32 s18, s18, s17
	s_waitcnt vmcnt(0)
	v_add_co_u32 v33, vcc_lo, v25, s19
	v_add_co_ci_u32_e64 v34, null, s18, v26, vcc_lo
	s_and_saveexec_b32 s17, s4
	s_cbranch_execz .LBB10_353
; %bb.352:                              ;   in Loop: Header=BB10_289 Depth=1
	v_mov_b32_e32 v9, s5
	global_store_dwordx4 v[33:34], v[9:12], off offset:8
.LBB10_353:                             ;   in Loop: Header=BB10_289 Depth=1
	s_or_b32 exec_lo, exec_lo, s17
	v_cmp_gt_u64_e32 vcc_lo, 57, v[29:30]
	s_lshl_b64 s[12:13], s[12:13], 12
	v_and_b32_e32 v0, 0xffffff1f, v0
	v_lshl_add_u32 v35, v31, 2, 28
	v_cndmask_b32_e32 v9, 0, v4, vcc_lo
	v_add_co_u32 v27, vcc_lo, v27, s12
	v_add_co_ci_u32_e64 v28, null, s13, v28, vcc_lo
	v_or_b32_e32 v0, v0, v9
	v_readfirstlane_b32 s12, v27
	v_readfirstlane_b32 s13, v28
	v_and_or_b32 v0, 0x1e0, v35, v0
	global_store_dwordx4 v38, v[13:16], s[12:13] offset:16
	global_store_dwordx4 v38, v[17:20], s[12:13] offset:32
	global_store_dwordx4 v38, v[0:3], s[12:13]
	global_store_dwordx4 v38, v[21:24], s[12:13] offset:48
	s_and_saveexec_b32 s5, s4
	s_cbranch_execz .LBB10_361
; %bb.354:                              ;   in Loop: Header=BB10_289 Depth=1
	s_clause 0x1
	global_load_dwordx2 v[17:18], v10, s[6:7] offset:32 glc dlc
	global_load_dwordx2 v[0:1], v10, s[6:7] offset:40
	v_mov_b32_e32 v15, s10
	v_mov_b32_e32 v16, s11
	s_waitcnt vmcnt(0)
	v_readfirstlane_b32 s12, v0
	v_readfirstlane_b32 s13, v1
	s_and_b64 s[12:13], s[12:13], s[10:11]
	s_mul_i32 s13, s13, 24
	s_mul_hi_u32 s17, s12, 24
	s_mul_i32 s12, s12, 24
	s_add_i32 s17, s17, s13
	v_add_co_u32 v13, vcc_lo, v25, s12
	v_add_co_ci_u32_e64 v14, null, s17, v26, vcc_lo
	s_mov_b32 s12, exec_lo
	global_store_dwordx2 v[13:14], v[17:18], off
	s_waitcnt_vscnt null, 0x0
	global_atomic_cmpswap_x2 v[2:3], v10, v[15:18], s[6:7] offset:32 glc
	s_waitcnt vmcnt(0)
	v_cmpx_ne_u64_e64 v[2:3], v[17:18]
	s_cbranch_execz .LBB10_357
; %bb.355:                              ;   in Loop: Header=BB10_289 Depth=1
	s_mov_b32 s13, 0
.LBB10_356:                             ;   Parent Loop BB10_289 Depth=1
                                        ; =>  This Inner Loop Header: Depth=2
	v_mov_b32_e32 v0, s10
	v_mov_b32_e32 v1, s11
	s_sleep 1
	global_store_dwordx2 v[13:14], v[2:3], off
	s_waitcnt_vscnt null, 0x0
	global_atomic_cmpswap_x2 v[0:1], v10, v[0:3], s[6:7] offset:32 glc
	s_waitcnt vmcnt(0)
	v_cmp_eq_u64_e32 vcc_lo, v[0:1], v[2:3]
	v_mov_b32_e32 v3, v1
	v_mov_b32_e32 v2, v0
	s_or_b32 s13, vcc_lo, s13
	s_andn2_b32 exec_lo, exec_lo, s13
	s_cbranch_execnz .LBB10_356
.LBB10_357:                             ;   in Loop: Header=BB10_289 Depth=1
	s_or_b32 exec_lo, exec_lo, s12
	global_load_dwordx2 v[0:1], v10, s[6:7] offset:16
	s_mov_b32 s13, exec_lo
	s_mov_b32 s12, exec_lo
	v_mbcnt_lo_u32_b32 v2, s13, 0
	v_cmpx_eq_u32_e32 0, v2
	s_cbranch_execz .LBB10_359
; %bb.358:                              ;   in Loop: Header=BB10_289 Depth=1
	s_bcnt1_i32_b32 s13, s13
	v_mov_b32_e32 v9, s13
	s_waitcnt vmcnt(0)
	global_atomic_add_x2 v[0:1], v[9:10], off offset:8
.LBB10_359:                             ;   in Loop: Header=BB10_289 Depth=1
	s_or_b32 exec_lo, exec_lo, s12
	s_waitcnt vmcnt(0)
	global_load_dwordx2 v[2:3], v[0:1], off offset:16
	s_waitcnt vmcnt(0)
	v_cmp_eq_u64_e32 vcc_lo, 0, v[2:3]
	s_cbranch_vccnz .LBB10_361
; %bb.360:                              ;   in Loop: Header=BB10_289 Depth=1
	global_load_dword v9, v[0:1], off offset:24
	s_waitcnt vmcnt(0)
	v_readfirstlane_b32 s12, v9
	s_waitcnt_vscnt null, 0x0
	global_store_dwordx2 v[2:3], v[9:10], off
	s_and_b32 m0, s12, 0x7fffff
	s_sendmsg sendmsg(MSG_INTERRUPT)
.LBB10_361:                             ;   in Loop: Header=BB10_289 Depth=1
	s_or_b32 exec_lo, exec_lo, s5
	v_add_co_u32 v0, vcc_lo, v27, v38
	v_add_co_ci_u32_e64 v1, null, 0, v28, vcc_lo
	s_branch .LBB10_365
	.p2align	6
.LBB10_362:                             ;   in Loop: Header=BB10_365 Depth=2
	s_or_b32 exec_lo, exec_lo, s5
	v_readfirstlane_b32 s5, v2
	s_cmp_eq_u32 s5, 0
	s_cbranch_scc1 .LBB10_364
; %bb.363:                              ;   in Loop: Header=BB10_365 Depth=2
	s_sleep 1
	s_cbranch_execnz .LBB10_365
	s_branch .LBB10_367
	.p2align	6
.LBB10_364:                             ;   in Loop: Header=BB10_289 Depth=1
	s_branch .LBB10_367
.LBB10_365:                             ;   Parent Loop BB10_289 Depth=1
                                        ; =>  This Inner Loop Header: Depth=2
	v_mov_b32_e32 v2, 1
	s_and_saveexec_b32 s5, s4
	s_cbranch_execz .LBB10_362
; %bb.366:                              ;   in Loop: Header=BB10_365 Depth=2
	global_load_dword v2, v[33:34], off offset:20 glc dlc
	s_waitcnt vmcnt(0)
	buffer_gl1_inv
	buffer_gl0_inv
	v_and_b32_e32 v2, 1, v2
	s_branch .LBB10_362
.LBB10_367:                             ;   in Loop: Header=BB10_289 Depth=1
	global_load_dwordx2 v[0:1], v[0:1], off
	s_and_saveexec_b32 s12, s4
	s_cbranch_execz .LBB10_288
; %bb.368:                              ;   in Loop: Header=BB10_289 Depth=1
	s_clause 0x2
	global_load_dwordx2 v[2:3], v10, s[6:7] offset:40
	global_load_dwordx2 v[17:18], v10, s[6:7] offset:24 glc dlc
	global_load_dwordx2 v[13:14], v10, s[6:7]
	s_waitcnt vmcnt(2)
	v_readfirstlane_b32 s18, v2
	v_readfirstlane_b32 s19, v3
	s_add_u32 s13, s18, 1
	s_addc_u32 s17, s19, 0
	s_add_u32 s4, s13, s10
	s_addc_u32 s5, s17, s11
	s_cmp_eq_u64 s[4:5], 0
	s_cselect_b32 s5, s17, s5
	s_cselect_b32 s4, s13, s4
	v_mov_b32_e32 v16, s5
	s_and_b64 s[10:11], s[4:5], s[18:19]
	v_mov_b32_e32 v15, s4
	s_mul_i32 s11, s11, 24
	s_mul_hi_u32 s13, s10, 24
	s_mul_i32 s10, s10, 24
	s_add_i32 s13, s13, s11
	s_waitcnt vmcnt(0)
	v_add_co_u32 v2, vcc_lo, v13, s10
	v_add_co_ci_u32_e64 v3, null, s13, v14, vcc_lo
	global_store_dwordx2 v[2:3], v[17:18], off
	s_waitcnt_vscnt null, 0x0
	global_atomic_cmpswap_x2 v[15:16], v10, v[15:18], s[6:7] offset:24 glc
	s_waitcnt vmcnt(0)
	v_cmp_ne_u64_e32 vcc_lo, v[15:16], v[17:18]
	s_and_b32 exec_lo, exec_lo, vcc_lo
	s_cbranch_execz .LBB10_288
; %bb.369:                              ;   in Loop: Header=BB10_289 Depth=1
	s_mov_b32 s10, 0
.LBB10_370:                             ;   Parent Loop BB10_289 Depth=1
                                        ; =>  This Inner Loop Header: Depth=2
	v_mov_b32_e32 v13, s4
	v_mov_b32_e32 v14, s5
	s_sleep 1
	global_store_dwordx2 v[2:3], v[15:16], off
	s_waitcnt_vscnt null, 0x0
	global_atomic_cmpswap_x2 v[13:14], v10, v[13:16], s[6:7] offset:24 glc
	s_waitcnt vmcnt(0)
	v_cmp_eq_u64_e32 vcc_lo, v[13:14], v[15:16]
	v_mov_b32_e32 v16, v14
	v_mov_b32_e32 v15, v13
	s_or_b32 s10, vcc_lo, s10
	s_andn2_b32 exec_lo, exec_lo, s10
	s_cbranch_execnz .LBB10_370
	s_branch .LBB10_288
.LBB10_371:
	s_or_b32 exec_lo, exec_lo, s15
                                        ; implicit-def: $vgpr38
                                        ; implicit-def: $vgpr37
.LBB10_372:
	s_andn2_saveexec_b32 s14, s14
	s_cbranch_execz .LBB10_400
; %bb.373:
	v_readfirstlane_b32 s4, v37
	v_mov_b32_e32 v3, 0
	v_mov_b32_e32 v4, 0
	v_cmp_eq_u32_e64 s4, s4, v37
	s_and_saveexec_b32 s5, s4
	s_cbranch_execz .LBB10_379
; %bb.374:
	v_mov_b32_e32 v2, 0
	s_mov_b32 s10, exec_lo
	global_load_dwordx2 v[5:6], v2, s[6:7] offset:24 glc dlc
	s_waitcnt vmcnt(0)
	buffer_gl1_inv
	buffer_gl0_inv
	s_clause 0x1
	global_load_dwordx2 v[3:4], v2, s[6:7] offset:40
	global_load_dwordx2 v[9:10], v2, s[6:7]
	s_waitcnt vmcnt(1)
	v_and_b32_e32 v4, v4, v6
	v_and_b32_e32 v3, v3, v5
	v_mul_lo_u32 v4, v4, 24
	v_mul_hi_u32 v11, v3, 24
	v_mul_lo_u32 v3, v3, 24
	v_add_nc_u32_e32 v4, v11, v4
	s_waitcnt vmcnt(0)
	v_add_co_u32 v3, vcc_lo, v9, v3
	v_add_co_ci_u32_e64 v4, null, v10, v4, vcc_lo
	global_load_dwordx2 v[3:4], v[3:4], off glc dlc
	s_waitcnt vmcnt(0)
	global_atomic_cmpswap_x2 v[3:4], v2, v[3:6], s[6:7] offset:24 glc
	s_waitcnt vmcnt(0)
	buffer_gl1_inv
	buffer_gl0_inv
	v_cmpx_ne_u64_e64 v[3:4], v[5:6]
	s_cbranch_execz .LBB10_378
; %bb.375:
	s_mov_b32 s11, 0
	.p2align	6
.LBB10_376:                             ; =>This Inner Loop Header: Depth=1
	s_sleep 1
	s_clause 0x1
	global_load_dwordx2 v[9:10], v2, s[6:7] offset:40
	global_load_dwordx2 v[11:12], v2, s[6:7]
	v_mov_b32_e32 v6, v4
	v_mov_b32_e32 v5, v3
	s_waitcnt vmcnt(1)
	v_and_b32_e32 v3, v9, v5
	v_and_b32_e32 v9, v10, v6
	s_waitcnt vmcnt(0)
	v_mad_u64_u32 v[3:4], null, v3, 24, v[11:12]
	v_mad_u64_u32 v[9:10], null, v9, 24, v[4:5]
	v_mov_b32_e32 v4, v9
	global_load_dwordx2 v[3:4], v[3:4], off glc dlc
	s_waitcnt vmcnt(0)
	global_atomic_cmpswap_x2 v[3:4], v2, v[3:6], s[6:7] offset:24 glc
	s_waitcnt vmcnt(0)
	buffer_gl1_inv
	buffer_gl0_inv
	v_cmp_eq_u64_e32 vcc_lo, v[3:4], v[5:6]
	s_or_b32 s11, vcc_lo, s11
	s_andn2_b32 exec_lo, exec_lo, s11
	s_cbranch_execnz .LBB10_376
; %bb.377:
	s_or_b32 exec_lo, exec_lo, s11
.LBB10_378:
	s_or_b32 exec_lo, exec_lo, s10
.LBB10_379:
	s_or_b32 exec_lo, exec_lo, s5
	v_mov_b32_e32 v2, 0
	v_readfirstlane_b32 s11, v4
	v_readfirstlane_b32 s10, v3
	s_mov_b32 s5, exec_lo
	s_clause 0x1
	global_load_dwordx2 v[5:6], v2, s[6:7] offset:40
	global_load_dwordx4 v[9:12], v2, s[6:7]
	s_waitcnt vmcnt(1)
	v_readfirstlane_b32 s12, v5
	v_readfirstlane_b32 s13, v6
	s_and_b64 s[12:13], s[12:13], s[10:11]
	s_mul_i32 s15, s13, 24
	s_mul_hi_u32 s16, s12, 24
	s_mul_i32 s17, s12, 24
	s_add_i32 s16, s16, s15
	s_waitcnt vmcnt(0)
	v_add_co_u32 v4, vcc_lo, v9, s17
	v_add_co_ci_u32_e64 v5, null, s16, v10, vcc_lo
	s_and_saveexec_b32 s15, s4
	s_cbranch_execz .LBB10_381
; %bb.380:
	v_mov_b32_e32 v13, s5
	v_mov_b32_e32 v14, v2
	;; [unrolled: 1-line block ×4, first 2 shown]
	global_store_dwordx4 v[4:5], v[13:16], off offset:8
.LBB10_381:
	s_or_b32 exec_lo, exec_lo, s15
	s_lshl_b64 s[12:13], s[12:13], 12
	s_mov_b32 s16, 0
	v_add_co_u32 v6, vcc_lo, v11, s12
	v_add_co_ci_u32_e64 v12, null, s13, v12, vcc_lo
	s_mov_b32 s17, s16
	v_add_co_u32 v11, vcc_lo, v6, v38
	s_mov_b32 s18, s16
	s_mov_b32 s19, s16
	v_and_or_b32 v0, 0xffffff1f, v0, 32
	v_mov_b32_e32 v3, v2
	v_readfirstlane_b32 s12, v6
	v_readfirstlane_b32 s13, v12
	v_mov_b32_e32 v13, s16
	v_add_co_ci_u32_e64 v12, null, 0, v12, vcc_lo
	v_mov_b32_e32 v14, s17
	v_mov_b32_e32 v15, s18
	;; [unrolled: 1-line block ×3, first 2 shown]
	global_store_dwordx4 v38, v[0:3], s[12:13]
	global_store_dwordx4 v38, v[13:16], s[12:13] offset:16
	global_store_dwordx4 v38, v[13:16], s[12:13] offset:32
	;; [unrolled: 1-line block ×3, first 2 shown]
	s_and_saveexec_b32 s5, s4
	s_cbranch_execz .LBB10_389
; %bb.382:
	v_mov_b32_e32 v6, 0
	v_mov_b32_e32 v13, s10
	;; [unrolled: 1-line block ×3, first 2 shown]
	s_clause 0x1
	global_load_dwordx2 v[15:16], v6, s[6:7] offset:32 glc dlc
	global_load_dwordx2 v[0:1], v6, s[6:7] offset:40
	s_waitcnt vmcnt(0)
	v_readfirstlane_b32 s12, v0
	v_readfirstlane_b32 s13, v1
	s_and_b64 s[12:13], s[12:13], s[10:11]
	s_mul_i32 s13, s13, 24
	s_mul_hi_u32 s15, s12, 24
	s_mul_i32 s12, s12, 24
	s_add_i32 s15, s15, s13
	v_add_co_u32 v9, vcc_lo, v9, s12
	v_add_co_ci_u32_e64 v10, null, s15, v10, vcc_lo
	s_mov_b32 s12, exec_lo
	global_store_dwordx2 v[9:10], v[15:16], off
	s_waitcnt_vscnt null, 0x0
	global_atomic_cmpswap_x2 v[2:3], v6, v[13:16], s[6:7] offset:32 glc
	s_waitcnt vmcnt(0)
	v_cmpx_ne_u64_e64 v[2:3], v[15:16]
	s_cbranch_execz .LBB10_385
; %bb.383:
	s_mov_b32 s13, 0
.LBB10_384:                             ; =>This Inner Loop Header: Depth=1
	v_mov_b32_e32 v0, s10
	v_mov_b32_e32 v1, s11
	s_sleep 1
	global_store_dwordx2 v[9:10], v[2:3], off
	s_waitcnt_vscnt null, 0x0
	global_atomic_cmpswap_x2 v[0:1], v6, v[0:3], s[6:7] offset:32 glc
	s_waitcnt vmcnt(0)
	v_cmp_eq_u64_e32 vcc_lo, v[0:1], v[2:3]
	v_mov_b32_e32 v3, v1
	v_mov_b32_e32 v2, v0
	s_or_b32 s13, vcc_lo, s13
	s_andn2_b32 exec_lo, exec_lo, s13
	s_cbranch_execnz .LBB10_384
.LBB10_385:
	s_or_b32 exec_lo, exec_lo, s12
	v_mov_b32_e32 v3, 0
	s_mov_b32 s13, exec_lo
	s_mov_b32 s12, exec_lo
	v_mbcnt_lo_u32_b32 v2, s13, 0
	global_load_dwordx2 v[0:1], v3, s[6:7] offset:16
	v_cmpx_eq_u32_e32 0, v2
	s_cbranch_execz .LBB10_387
; %bb.386:
	s_bcnt1_i32_b32 s13, s13
	v_mov_b32_e32 v2, s13
	s_waitcnt vmcnt(0)
	global_atomic_add_x2 v[0:1], v[2:3], off offset:8
.LBB10_387:
	s_or_b32 exec_lo, exec_lo, s12
	s_waitcnt vmcnt(0)
	global_load_dwordx2 v[2:3], v[0:1], off offset:16
	s_waitcnt vmcnt(0)
	v_cmp_eq_u64_e32 vcc_lo, 0, v[2:3]
	s_cbranch_vccnz .LBB10_389
; %bb.388:
	global_load_dword v0, v[0:1], off offset:24
	v_mov_b32_e32 v1, 0
	s_waitcnt vmcnt(0)
	v_readfirstlane_b32 s12, v0
	s_waitcnt_vscnt null, 0x0
	global_store_dwordx2 v[2:3], v[0:1], off
	s_and_b32 m0, s12, 0x7fffff
	s_sendmsg sendmsg(MSG_INTERRUPT)
.LBB10_389:
	s_or_b32 exec_lo, exec_lo, s5
	s_branch .LBB10_393
	.p2align	6
.LBB10_390:                             ;   in Loop: Header=BB10_393 Depth=1
	s_or_b32 exec_lo, exec_lo, s5
	v_readfirstlane_b32 s5, v0
	s_cmp_eq_u32 s5, 0
	s_cbranch_scc1 .LBB10_392
; %bb.391:                              ;   in Loop: Header=BB10_393 Depth=1
	s_sleep 1
	s_cbranch_execnz .LBB10_393
	s_branch .LBB10_395
	.p2align	6
.LBB10_392:
	s_branch .LBB10_395
.LBB10_393:                             ; =>This Inner Loop Header: Depth=1
	v_mov_b32_e32 v0, 1
	s_and_saveexec_b32 s5, s4
	s_cbranch_execz .LBB10_390
; %bb.394:                              ;   in Loop: Header=BB10_393 Depth=1
	global_load_dword v0, v[4:5], off offset:20 glc dlc
	s_waitcnt vmcnt(0)
	buffer_gl1_inv
	buffer_gl0_inv
	v_and_b32_e32 v0, 1, v0
	s_branch .LBB10_390
.LBB10_395:
	global_load_dwordx2 v[0:1], v[11:12], off
	s_and_saveexec_b32 s12, s4
	s_cbranch_execz .LBB10_399
; %bb.396:
	v_mov_b32_e32 v6, 0
	s_clause 0x2
	global_load_dwordx2 v[2:3], v6, s[6:7] offset:40
	global_load_dwordx2 v[13:14], v6, s[6:7] offset:24 glc dlc
	global_load_dwordx2 v[4:5], v6, s[6:7]
	s_waitcnt vmcnt(2)
	v_readfirstlane_b32 s16, v2
	v_readfirstlane_b32 s17, v3
	s_add_u32 s13, s16, 1
	s_addc_u32 s15, s17, 0
	s_add_u32 s4, s13, s10
	s_addc_u32 s5, s15, s11
	s_cmp_eq_u64 s[4:5], 0
	s_cselect_b32 s5, s15, s5
	s_cselect_b32 s4, s13, s4
	v_mov_b32_e32 v12, s5
	s_and_b64 s[10:11], s[4:5], s[16:17]
	v_mov_b32_e32 v11, s4
	s_mul_i32 s11, s11, 24
	s_mul_hi_u32 s13, s10, 24
	s_mul_i32 s10, s10, 24
	s_add_i32 s13, s13, s11
	s_waitcnt vmcnt(0)
	v_add_co_u32 v9, vcc_lo, v4, s10
	v_add_co_ci_u32_e64 v10, null, s13, v5, vcc_lo
	global_store_dwordx2 v[9:10], v[13:14], off
	s_waitcnt_vscnt null, 0x0
	global_atomic_cmpswap_x2 v[4:5], v6, v[11:14], s[6:7] offset:24 glc
	s_waitcnt vmcnt(0)
	v_cmp_ne_u64_e32 vcc_lo, v[4:5], v[13:14]
	s_and_b32 exec_lo, exec_lo, vcc_lo
	s_cbranch_execz .LBB10_399
; %bb.397:
	s_mov_b32 s10, 0
.LBB10_398:                             ; =>This Inner Loop Header: Depth=1
	v_mov_b32_e32 v2, s4
	v_mov_b32_e32 v3, s5
	s_sleep 1
	global_store_dwordx2 v[9:10], v[4:5], off
	s_waitcnt_vscnt null, 0x0
	global_atomic_cmpswap_x2 v[2:3], v6, v[2:5], s[6:7] offset:24 glc
	s_waitcnt vmcnt(0)
	v_cmp_eq_u64_e32 vcc_lo, v[2:3], v[4:5]
	v_mov_b32_e32 v5, v3
	v_mov_b32_e32 v4, v2
	s_or_b32 s10, vcc_lo, s10
	s_andn2_b32 exec_lo, exec_lo, s10
	s_cbranch_execnz .LBB10_398
.LBB10_399:
	s_or_b32 exec_lo, exec_lo, s12
.LBB10_400:
	s_or_b32 exec_lo, exec_lo, s14
	v_mov_b32_e32 v2, v7
	v_mov_b32_e32 v3, v8
	s_mov_b32 s4, 0
.LBB10_401:                             ; =>This Inner Loop Header: Depth=1
	global_load_ubyte v6, v[2:3], off
	v_add_co_u32 v4, vcc_lo, v2, 1
	v_add_co_ci_u32_e64 v5, null, 0, v3, vcc_lo
	v_mov_b32_e32 v2, v4
	v_mov_b32_e32 v3, v5
	s_waitcnt vmcnt(0)
	v_cmp_eq_u16_e32 vcc_lo, 0, v6
	s_or_b32 s4, vcc_lo, s4
	s_andn2_b32 exec_lo, exec_lo, s4
	s_cbranch_execnz .LBB10_401
; %bb.402:
	s_or_b32 exec_lo, exec_lo, s4
	v_sub_nc_u32_e32 v4, v4, v7
	v_mov_b32_e32 v2, v7
	v_mov_b32_e32 v3, v8
	;; [unrolled: 1-line block ×3, first 2 shown]
	s_getpc_b64 s[4:5]
	s_add_u32 s4, s4, __ockl_fprintf_append_string_n@rel32@lo+4
	s_addc_u32 s5, s5, __ockl_fprintf_append_string_n@rel32@hi+12
	v_ashrrev_i32_e32 v5, 31, v4
	s_swappc_b64 s[30:31], s[4:5]
	s_trap 2
.Lfunc_end10:
	.size	__assert_fail, .Lfunc_end10-__assert_fail
                                        ; -- End function
	.set .L__assert_fail.num_vgpr, max(52, .L__ockl_fprintf_append_string_n.num_vgpr)
	.set .L__assert_fail.num_agpr, max(0, .L__ockl_fprintf_append_string_n.num_agpr)
	.set .L__assert_fail.numbered_sgpr, max(34, .L__ockl_fprintf_append_string_n.numbered_sgpr)
	.set .L__assert_fail.num_named_barrier, max(0, .L__ockl_fprintf_append_string_n.num_named_barrier)
	.set .L__assert_fail.private_seg_size, 64+max(.L__ockl_fprintf_append_string_n.private_seg_size)
	.set .L__assert_fail.uses_vcc, or(1, .L__ockl_fprintf_append_string_n.uses_vcc)
	.set .L__assert_fail.uses_flat_scratch, or(0, .L__ockl_fprintf_append_string_n.uses_flat_scratch)
	.set .L__assert_fail.has_dyn_sized_stack, or(0, .L__ockl_fprintf_append_string_n.has_dyn_sized_stack)
	.set .L__assert_fail.has_recursion, or(0, .L__ockl_fprintf_append_string_n.has_recursion)
	.set .L__assert_fail.has_indirect_call, or(0, .L__ockl_fprintf_append_string_n.has_indirect_call)
	.section	.AMDGPU.csdata,"",@progbits
; Function info:
; codeLenInByte = 16220
; TotalNumSgprs: 36
; NumVgprs: 52
; ScratchSize: 64
; MemoryBound: 0
	.section	.text._ZN9rocsolver6v33100L15syevx_sort_eigsIffPfEEviPiPT0_lT1_iilS3_lS3_S3_,"axG",@progbits,_ZN9rocsolver6v33100L15syevx_sort_eigsIffPfEEviPiPT0_lT1_iilS3_lS3_S3_,comdat
	.globl	_ZN9rocsolver6v33100L15syevx_sort_eigsIffPfEEviPiPT0_lT1_iilS3_lS3_S3_ ; -- Begin function _ZN9rocsolver6v33100L15syevx_sort_eigsIffPfEEviPiPT0_lT1_iilS3_lS3_S3_
	.p2align	8
	.type	_ZN9rocsolver6v33100L15syevx_sort_eigsIffPfEEviPiPT0_lT1_iilS3_lS3_S3_,@function
_ZN9rocsolver6v33100L15syevx_sort_eigsIffPfEEviPiPT0_lT1_iilS3_lS3_S3_: ; @_ZN9rocsolver6v33100L15syevx_sort_eigsIffPfEEviPiPT0_lT1_iilS3_lS3_S3_
; %bb.0:
	s_add_u32 s6, s6, s10
	s_addc_u32 s7, s7, 0
	s_mov_b32 s32, 0
	s_setreg_b32 hwreg(HW_REG_FLAT_SCR_LO), s6
	s_setreg_b32 hwreg(HW_REG_FLAT_SCR_HI), s7
	s_load_dwordx8 s[36:43], s[4:5], 0x8
	s_mov_b32 s24, s9
	s_mov_b32 s25, 0
	s_add_u32 s0, s0, s10
	s_addc_u32 s1, s1, 0
	s_load_dwordx8 s[44:51], s[4:5], 0x30
	s_lshl_b64 s[6:7], s[24:25], 2
	s_mov_b64 s[22:23], s[4:5]
	s_mov_b64 s[26:27], 0
	s_waitcnt lgkmcnt(0)
	s_add_u32 s8, s36, s6
	s_addc_u32 s9, s37, s7
	s_load_dwordx2 s[4:5], s[4:5], 0x50
	s_load_dword s21, s[8:9], 0x0
	s_add_u32 s6, s50, s6
	s_addc_u32 s7, s51, s7
	s_cmp_eq_u64 s[46:47], 0
	s_cbranch_scc1 .LBB11_2
; %bb.1:
	s_mul_i32 s8, s49, s24
	s_mul_hi_u32 s9, s48, s24
	s_add_i32 s9, s9, s8
	s_mul_i32 s8, s48, s24
	s_lshl_b64 s[8:9], s[8:9], 2
	s_add_u32 s26, s46, s8
	s_addc_u32 s27, s47, s9
.LBB11_2:
	s_load_dword s35, s[22:23], 0x0
	s_mov_b32 s8, -1
	s_waitcnt lgkmcnt(0)
	s_cmp_le_i32 s21, s35
	s_cbranch_scc1 .LBB11_6
; %bb.3:
	s_and_b32 vcc_lo, exec_lo, s8
	s_cbranch_vccnz .LBB11_80
.LBB11_4:
	s_and_saveexec_b32 s4, s25
	s_cbranch_execnz .LBB11_81
.LBB11_5:
	s_endpgm
.LBB11_6:
	s_cmp_lg_u64 s[4:5], 0
	s_cbranch_scc0 .LBB11_28
; %bb.7:
	s_load_dwordx2 s[8:9], s[22:23], 0x64
	s_load_dword s36, s[6:7], 0x0
	s_mul_i32 s28, s35, s24
	s_mov_b32 s29, 0
	s_waitcnt lgkmcnt(0)
	s_lshl_b64 s[6:7], s[28:29], 2
	s_barrier
	buffer_gl0_inv
	s_and_b32 s9, s9, 0xffff
	s_lshr_b32 s10, s8, 16
	s_and_b32 s8, s8, 0xffff
	s_and_b32 s9, s9, 0xffff
	s_add_u32 s28, s4, s6
	s_addc_u32 s34, s5, s7
	s_cmp_gt_i32 s21, 0
	s_mul_i32 s37, s10, s8
	s_cselect_b32 s6, -1, 0
	s_cmp_lg_u64 s[38:39], 0
	v_mul_lo_u32 v42, s37, v2
	s_cselect_b32 s7, -1, 0
	v_mul_u32_u24_e32 v43, s8, v1
	s_and_b32 s6, s7, s6
	s_mul_i32 s37, s37, s9
	s_and_b32 vcc_lo, exec_lo, s6
	s_cbranch_vccz .LBB11_29
; %bb.8:
	v_add3_u32 v41, v43, v0, v42
	s_cmp_lg_u64 s[4:5], 0
	s_cselect_b32 s16, -1, 0
	s_barrier
	v_cmp_gt_u32_e32 vcc_lo, s21, v41
	buffer_gl0_inv
	s_and_b32 s5, s16, vcc_lo
	s_and_saveexec_b32 s4, s5
	s_cbranch_execz .LBB11_11
; %bb.9:
	v_mov_b32_e32 v4, 0
	v_mov_b32_e32 v3, v41
	s_mov_b32 s5, 0
.LBB11_10:                              ; =>This Inner Loop Header: Depth=1
	v_lshlrev_b64 v[5:6], 2, v[3:4]
	v_add_co_u32 v5, vcc_lo, s28, v5
	v_add_co_ci_u32_e64 v6, null, s34, v6, vcc_lo
	global_store_dword v[5:6], v3, off
	v_add_nc_u32_e32 v3, s37, v3
	v_cmp_le_u32_e32 vcc_lo, s21, v3
	s_or_b32 s5, vcc_lo, s5
	s_andn2_b32 exec_lo, exec_lo, s5
	s_cbranch_execnz .LBB11_10
.LBB11_11:
	s_or_b32 exec_lo, exec_lo, s4
	s_mul_i32 s4, s41, s24
	s_mul_hi_u32 s5, s40, s24
	s_mul_i32 s6, s40, s24
	s_add_i32 s7, s5, s4
	v_or3_b32 v1, v1, v2, v0
	s_lshl_b64 s[6:7], s[6:7], 2
	s_mov_b32 s5, 0
	s_add_u32 s14, s38, s6
	s_addc_u32 s15, s39, s7
	s_mov_b32 s17, exec_lo
	s_waitcnt_vscnt null, 0x0
	s_barrier
	buffer_gl0_inv
	v_cmpx_eq_u32_e32 0, v1
	s_cbranch_execz .LBB11_30
; %bb.12:
	v_mov_b32_e32 v1, 0
	s_mov_b32 s6, s5
	s_branch .LBB11_14
.LBB11_13:                              ;   in Loop: Header=BB11_14 Depth=1
	s_add_i32 s6, s6, 1
	s_cmp_eq_u32 s6, 8
	s_cbranch_scc1 .LBB11_30
.LBB11_14:                              ; =>This Loop Header: Depth=1
                                        ;     Child Loop BB11_17 Depth 2
                                        ;       Child Loop BB11_21 Depth 3
	s_mov_b32 s7, s5
	s_getpc_b64 s[8:9]
	s_add_u32 s8, s8, __const._ZN9rocsolver6v33100L20shell_sort_ascendingIfiEEvT0_PT_PS2_.gaps@rel32@lo+4
	s_addc_u32 s9, s9, __const._ZN9rocsolver6v33100L20shell_sort_ascendingIfiEEvT0_PT_PS2_.gaps@rel32@hi+12
	s_lshl_b64 s[10:11], s[6:7], 2
	s_add_u32 s8, s8, s10
	s_addc_u32 s9, s9, s11
	s_load_dword s7, s[8:9], 0x0
	s_waitcnt lgkmcnt(0)
	s_cmp_ge_i32 s7, s21
	s_cbranch_scc1 .LBB11_13
; %bb.15:                               ;   in Loop: Header=BB11_14 Depth=1
	s_mov_b32 s18, 0
	s_mov_b32 s8, s7
	s_branch .LBB11_17
.LBB11_16:                              ;   in Loop: Header=BB11_17 Depth=2
	s_add_i32 s8, s8, 1
	s_add_i32 s18, s18, 1
	s_cmp_ge_i32 s8, s21
	s_cbranch_scc1 .LBB11_13
.LBB11_17:                              ;   Parent Loop BB11_14 Depth=1
                                        ; =>  This Loop Header: Depth=2
                                        ;       Child Loop BB11_21 Depth 3
	s_ashr_i32 s9, s8, 31
	s_lshl_b64 s[10:11], s[8:9], 2
	s_add_u32 s12, s14, s10
	s_addc_u32 s13, s15, s11
	s_andn2_b32 vcc_lo, exec_lo, s16
	global_load_dword v2, v1, s[12:13]
	s_cbranch_vccnz .LBB11_19
; %bb.18:                               ;   in Loop: Header=BB11_17 Depth=2
	s_add_u32 s10, s28, s10
	s_addc_u32 s11, s34, s11
	global_load_dword v3, v1, s[10:11]
	s_cmp_lt_i32 s8, s7
	s_mov_b64 s[10:11], s[8:9]
	s_mov_b32 s4, s18
	s_cbranch_scc0 .LBB11_21
	s_branch .LBB11_26
.LBB11_19:                              ;   in Loop: Header=BB11_17 Depth=2
	v_mov_b32_e32 v3, 0
	s_cmp_lt_i32 s8, s7
	s_mov_b64 s[10:11], s[8:9]
	s_mov_b32 s4, s18
	s_cbranch_scc0 .LBB11_21
	s_branch .LBB11_26
	.p2align	6
.LBB11_20:                              ;   in Loop: Header=BB11_21 Depth=3
                                        ; implicit-def: $sgpr9
	s_and_b32 vcc_lo, exec_lo, s11
	s_mov_b32 s4, s9
	s_cbranch_vccnz .LBB11_25
.LBB11_21:                              ;   Parent Loop BB11_14 Depth=1
                                        ;     Parent Loop BB11_17 Depth=2
                                        ; =>    This Inner Loop Header: Depth=3
	s_lshl_b64 s[12:13], s[4:5], 2
	s_add_i32 s10, s7, s4
	s_add_u32 s30, s14, s12
	s_addc_u32 s31, s15, s13
	s_mov_b32 s11, -1
	global_load_dword v4, v1, s[30:31]
	s_waitcnt vmcnt(0)
	v_cmp_ngt_f32_e32 vcc_lo, v4, v2
	s_cbranch_vccnz .LBB11_20
; %bb.22:                               ;   in Loop: Header=BB11_21 Depth=3
	s_ashr_i32 s11, s10, 31
	s_lshl_b64 s[10:11], s[10:11], 2
	s_add_u32 s30, s14, s10
	s_addc_u32 s31, s15, s11
	s_andn2_b32 vcc_lo, exec_lo, s16
	global_store_dword v1, v4, s[30:31]
	s_cbranch_vccnz .LBB11_24
; %bb.23:                               ;   in Loop: Header=BB11_21 Depth=3
	s_add_u32 s10, s28, s10
	s_addc_u32 s11, s34, s11
	s_add_u32 s12, s28, s12
	s_addc_u32 s13, s34, s13
	global_load_dword v4, v1, s[12:13]
	s_waitcnt vmcnt(0)
	global_store_dword v1, v4, s[10:11]
.LBB11_24:                              ;   in Loop: Header=BB11_21 Depth=3
	s_sub_i32 s9, s4, s7
	s_cmp_lt_i32 s4, s7
	s_mov_b32 s10, s4
	s_cselect_b32 s11, -1, 0
	s_and_b32 vcc_lo, exec_lo, s11
	s_mov_b32 s4, s9
	s_cbranch_vccz .LBB11_21
.LBB11_25:                              ;   in Loop: Header=BB11_17 Depth=2
	s_ashr_i32 s11, s10, 31
.LBB11_26:                              ;   in Loop: Header=BB11_17 Depth=2
	s_lshl_b64 s[10:11], s[10:11], 2
	s_add_u32 s12, s14, s10
	s_addc_u32 s13, s15, s11
	s_andn2_b32 vcc_lo, exec_lo, s16
	s_waitcnt vmcnt(0)
	global_store_dword v1, v2, s[12:13]
	s_cbranch_vccnz .LBB11_16
; %bb.27:                               ;   in Loop: Header=BB11_17 Depth=2
	s_add_u32 s10, s28, s10
	s_addc_u32 s11, s34, s11
	global_store_dword v1, v3, s[10:11]
	s_branch .LBB11_16
.LBB11_28:
	s_cbranch_execnz .LBB11_78
	s_branch .LBB11_79
.LBB11_29:
                                        ; implicit-def: $vgpr41
                                        ; implicit-def: $vgpr3
	s_cbranch_execnz .LBB11_45
	s_branch .LBB11_46
.LBB11_30:
	s_or_b32 exec_lo, exec_lo, s17
	s_cmp_lt_u32 s21, 2
	s_mov_b32 s29, 0
	s_cselect_b32 s7, -1, 0
	s_waitcnt_vscnt null, 0x0
	s_and_b32 vcc_lo, exec_lo, s7
	s_barrier
	buffer_gl0_inv
	s_cbranch_vccnz .LBB11_38
; %bb.31:
	s_add_i32 s6, s21, -1
	s_mov_b32 s7, -1
	s_mov_b32 s4, 0
	s_mov_b32 s5, exec_lo
	v_cmpx_gt_u32_e64 s6, v41
	s_cbranch_execz .LBB11_40
; %bb.32:
	v_mov_b32_e32 v2, 0
	v_mov_b32_e32 v1, v41
	s_mov_b32 s7, 0
                                        ; implicit-def: $sgpr8
	s_inst_prefetch 0x1
	s_branch .LBB11_34
	.p2align	6
.LBB11_33:                              ;   in Loop: Header=BB11_34 Depth=1
	s_or_b32 exec_lo, exec_lo, s11
	s_xor_b32 s9, s10, -1
	s_and_b32 s4, exec_lo, s4
	s_or_b32 s7, s4, s7
	s_andn2_b32 s4, s8, exec_lo
	s_and_b32 s8, s9, exec_lo
	s_or_b32 s8, s4, s8
	s_andn2_b32 exec_lo, exec_lo, s7
	s_cbranch_execz .LBB11_39
.LBB11_34:                              ; =>This Inner Loop Header: Depth=1
	v_lshlrev_b64 v[3:4], 2, v[1:2]
	s_mov_b32 s10, exec_lo
	v_add_co_u32 v3, vcc_lo, s14, v3
	v_add_co_ci_u32_e64 v4, null, s15, v4, vcc_lo
	global_load_dword v5, v[3:4], off
	s_waitcnt vmcnt(0)
	v_cmp_u_f32_e64 s9, v5, v5
	v_cmpx_o_f32_e32 v5, v5
	s_cbranch_execz .LBB11_36
; %bb.35:                               ;   in Loop: Header=BB11_34 Depth=1
	global_load_dword v3, v[3:4], off offset:4
	s_andn2_b32 s9, s9, exec_lo
	s_waitcnt vmcnt(0)
	v_cmp_u_f32_e32 vcc_lo, v3, v3
	v_cmp_le_f32_e64 s4, v5, v3
	s_or_b32 s4, vcc_lo, s4
	s_and_b32 s4, s4, exec_lo
	s_or_b32 s9, s9, s4
.LBB11_36:                              ;   in Loop: Header=BB11_34 Depth=1
	s_or_b32 exec_lo, exec_lo, s10
	s_mov_b32 s4, -1
	s_mov_b32 s10, -1
	s_and_saveexec_b32 s11, s9
	s_cbranch_execz .LBB11_33
; %bb.37:                               ;   in Loop: Header=BB11_34 Depth=1
	v_add_nc_u32_e32 v1, s37, v1
	s_xor_b32 s10, exec_lo, -1
	v_cmp_le_u32_e32 vcc_lo, s6, v1
	s_orn2_b32 s4, vcc_lo, exec_lo
	s_branch .LBB11_33
.LBB11_38:
	s_mov_b32 s4, 0
	s_and_saveexec_b32 s5, s7
	s_cbranch_execnz .LBB11_41
	s_branch .LBB11_42
.LBB11_39:
	s_inst_prefetch 0x2
	s_or_b32 exec_lo, exec_lo, s7
	s_mov_b32 s4, exec_lo
	s_orn2_b32 s7, s8, exec_lo
.LBB11_40:
	s_or_b32 exec_lo, exec_lo, s5
	s_and_saveexec_b32 s5, s7
	s_cbranch_execz .LBB11_42
.LBB11_41:
	s_mov_b32 s29, exec_lo
	s_barrier
	s_andn2_b32 s4, s4, exec_lo
	buffer_gl0_inv
.LBB11_42:
	s_or_b32 exec_lo, exec_lo, s5
	s_mov_b32 s38, 0
	s_mov_b32 s25, 0
	s_and_saveexec_b32 s5, s4
	s_xor_b32 s39, exec_lo, s5
	s_cbranch_execz .LBB11_44
; %bb.43:
	s_add_u32 s8, s22, 0x58
	s_addc_u32 s9, s23, 0
	s_getpc_b64 s[4:5]
	s_add_u32 s4, s4, .str.7@rel32@lo+4
	s_addc_u32 s5, s5, .str.7@rel32@hi+12
	s_getpc_b64 s[6:7]
	s_add_u32 s6, s6, .str.8@rel32@lo+4
	s_addc_u32 s7, s7, .str.8@rel32@hi+12
	s_getpc_b64 s[10:11]
	s_add_u32 s10, s10, __PRETTY_FUNCTION__._ZN9rocsolver6v33100L20shell_sort_ascendingIfiEEvT0_PT_PS2_@rel32@lo+4
	s_addc_u32 s11, s11, __PRETTY_FUNCTION__._ZN9rocsolver6v33100L20shell_sort_ascendingIfiEEvT0_PT_PS2_@rel32@hi+12
	v_mov_b32_e32 v44, v0
	v_mov_b32_e32 v0, s4
	;; [unrolled: 1-line block ×8, first 2 shown]
	s_getpc_b64 s[12:13]
	s_add_u32 s12, s12, __assert_fail@rel32@lo+4
	s_addc_u32 s13, s13, __assert_fail@rel32@hi+12
	s_swappc_b64 s[30:31], s[12:13]
	v_mov_b32_e32 v0, v44
	s_mov_b32 s25, exec_lo
.LBB11_44:
	s_or_b32 exec_lo, exec_lo, s39
	v_mov_b32_e32 v3, s37
	s_and_b32 vcc_lo, exec_lo, s38
	s_cbranch_vccz .LBB11_46
.LBB11_45:
	v_add3_u32 v41, v43, v0, v42
	v_mov_b32_e32 v3, s37
	s_or_b32 s29, s29, exec_lo
.LBB11_46:
	s_and_saveexec_b32 s37, s29
	s_cbranch_execz .LBB11_77
; %bb.47:
	s_cmp_lt_i32 s21, 1
	s_waitcnt_vscnt null, 0x0
	s_barrier
	buffer_gl0_inv
	s_cbranch_scc1 .LBB11_66
; %bb.48:
	s_load_dwordx2 s[10:11], s[22:23], 0x28
	s_mul_i32 s6, s45, s24
	s_mul_hi_u32 s7, s44, s24
	s_mul_i32 s12, s44, s24
	s_add_i32 s13, s7, s6
	v_cmp_eq_u32_e64 s4, 0, v41
	s_lshl_b64 s[12:13], s[12:13], 2
	v_cmp_gt_i32_e64 s5, s35, v41
	v_cmp_gt_i32_e64 s6, s36, v41
	v_mov_b32_e32 v4, 0
	s_mov_b32 s9, 0
	s_waitcnt lgkmcnt(0)
	s_ashr_i32 s15, s10, 31
	s_mov_b32 s14, s10
	s_add_u32 s7, s42, s12
	s_addc_u32 s8, s43, s13
	s_lshl_b64 s[12:13], s[14:15], 2
	s_mov_b32 s17, s11
	s_add_u32 s7, s7, s12
	s_addc_u32 s16, s8, s13
	s_cmp_lg_u64 s[26:27], 0
	s_mov_b32 s8, s9
	s_cselect_b32 s18, -1, 0
	s_branch .LBB11_50
.LBB11_49:                              ;   in Loop: Header=BB11_50 Depth=1
	s_add_i32 s8, s8, 1
	s_cmp_eq_u32 s8, s21
	s_cbranch_scc1 .LBB11_66
.LBB11_50:                              ; =>This Loop Header: Depth=1
                                        ;     Child Loop BB11_53 Depth 2
                                        ;       Child Loop BB11_57 Depth 3
                                        ;       Child Loop BB11_62 Depth 3
	s_lshl_b64 s[10:11], s[8:9], 2
	s_add_u32 s10, s28, s10
	s_addc_u32 s11, s34, s11
	s_barrier
	buffer_gl0_inv
	global_load_dword v0, v4, s[10:11]
	s_waitcnt vmcnt(0)
	v_cmp_eq_u32_e32 vcc_lo, s8, v0
	v_readfirstlane_b32 s12, v0
	s_cbranch_vccz .LBB11_53
	s_branch .LBB11_49
.LBB11_51:                              ;   in Loop: Header=BB11_53 Depth=2
	s_inst_prefetch 0x2
	s_or_b32 exec_lo, exec_lo, s14
	s_waitcnt_vscnt null, 0x0
	s_barrier
	buffer_gl0_inv
.LBB11_52:                              ;   in Loop: Header=BB11_53 Depth=2
	global_load_dword v0, v4, s[10:11]
	s_waitcnt vmcnt(0)
	v_cmp_ne_u32_e32 vcc_lo, s8, v0
	v_readfirstlane_b32 s12, v0
	s_cbranch_vccz .LBB11_49
.LBB11_53:                              ;   Parent Loop BB11_50 Depth=1
                                        ; =>  This Loop Header: Depth=2
                                        ;       Child Loop BB11_57 Depth 3
                                        ;       Child Loop BB11_62 Depth 3
	s_ashr_i32 s13, s12, 31
	s_lshl_b64 s[14:15], s[12:13], 2
	s_add_u32 s14, s28, s14
	s_addc_u32 s15, s34, s15
	global_load_dword v0, v4, s[14:15]
	s_waitcnt vmcnt(0)
	s_barrier
	buffer_gl0_inv
	v_readfirstlane_b32 s13, v0
	s_and_saveexec_b32 s19, s4
	s_cbranch_execz .LBB11_55
; %bb.54:                               ;   in Loop: Header=BB11_53 Depth=2
	v_mov_b32_e32 v0, s12
	v_mov_b32_e32 v1, s13
	global_store_dword v4, v0, s[14:15]
	global_store_dword v4, v1, s[10:11]
.LBB11_55:                              ;   in Loop: Header=BB11_53 Depth=2
	s_or_b32 exec_lo, exec_lo, s19
	s_waitcnt_vscnt null, 0x0
	s_barrier
	buffer_gl0_inv
	s_barrier
	buffer_gl0_inv
	s_and_saveexec_b32 s14, s5
	s_cbranch_execz .LBB11_58
; %bb.56:                               ;   in Loop: Header=BB11_53 Depth=2
	s_mul_hi_i32 s31, s12, s17
	s_mul_i32 s30, s12, s17
	s_mul_hi_i32 s39, s13, s17
	s_lshl_b64 s[30:31], s[30:31], 2
	s_mul_i32 s38, s13, s17
	s_add_u32 s15, s7, s30
	s_addc_u32 s19, s16, s31
	s_lshl_b64 s[30:31], s[38:39], 2
	v_mov_b32_e32 v0, v41
	s_add_u32 s20, s7, s30
	s_addc_u32 s24, s16, s31
	s_mov_b32 s29, 0
	.p2align	6
.LBB11_57:                              ;   Parent Loop BB11_50 Depth=1
                                        ;     Parent Loop BB11_53 Depth=2
                                        ; =>    This Inner Loop Header: Depth=3
	v_ashrrev_i32_e32 v1, 31, v0
	v_lshlrev_b64 v[1:2], 2, v[0:1]
	v_add_nc_u32_e32 v0, v0, v3
	v_add_co_u32 v5, vcc_lo, s20, v1
	v_add_co_ci_u32_e64 v6, null, s24, v2, vcc_lo
	v_add_co_u32 v1, vcc_lo, s15, v1
	v_add_co_ci_u32_e64 v2, null, s19, v2, vcc_lo
	s_clause 0x1
	global_load_dword v7, v[5:6], off
	global_load_dword v8, v[1:2], off
	v_cmp_le_i32_e32 vcc_lo, s35, v0
	s_waitcnt vmcnt(1)
	global_store_dword v[1:2], v7, off
	s_waitcnt vmcnt(0)
	global_store_dword v[5:6], v8, off
	s_or_b32 s29, vcc_lo, s29
	s_andn2_b32 exec_lo, exec_lo, s29
	s_cbranch_execnz .LBB11_57
.LBB11_58:                              ;   in Loop: Header=BB11_53 Depth=2
	s_or_b32 exec_lo, exec_lo, s14
	s_and_b32 vcc_lo, exec_lo, s18
	s_waitcnt_vscnt null, 0x0
	s_barrier
	buffer_gl0_inv
	s_cbranch_vccz .LBB11_52
; %bb.59:                               ;   in Loop: Header=BB11_53 Depth=2
	s_barrier
	buffer_gl0_inv
	s_and_saveexec_b32 s14, s6
	s_cbranch_execz .LBB11_51
; %bb.60:                               ;   in Loop: Header=BB11_53 Depth=2
	v_mov_b32_e32 v0, v41
	s_add_i32 s12, s12, 1
	s_add_i32 s13, s13, 1
	s_mov_b32 s15, 0
	s_inst_prefetch 0x1
	s_branch .LBB11_62
	.p2align	6
.LBB11_61:                              ;   in Loop: Header=BB11_62 Depth=3
	s_or_b32 exec_lo, exec_lo, s20
	v_add_nc_u32_e32 v0, v0, v3
	v_cmp_le_i32_e32 vcc_lo, s36, v0
	s_or_b32 s15, vcc_lo, s15
	s_andn2_b32 exec_lo, exec_lo, s15
	s_cbranch_execz .LBB11_51
.LBB11_62:                              ;   Parent Loop BB11_50 Depth=1
                                        ;     Parent Loop BB11_53 Depth=2
                                        ; =>    This Inner Loop Header: Depth=3
	v_ashrrev_i32_e32 v1, 31, v0
	v_mov_b32_e32 v5, s13
	s_mov_b32 s20, exec_lo
	v_lshlrev_b64 v[1:2], 2, v[0:1]
	v_add_co_u32 v1, vcc_lo, s26, v1
	v_add_co_ci_u32_e64 v2, null, s27, v2, vcc_lo
	global_load_dword v6, v[1:2], off
	s_waitcnt vmcnt(0)
	v_cmp_eq_u32_e64 s19, s12, v6
	v_cmpx_ne_u32_e64 s12, v6
; %bb.63:                               ;   in Loop: Header=BB11_62 Depth=3
	v_cmp_eq_u32_e32 vcc_lo, s13, v6
	v_mov_b32_e32 v5, s12
	s_andn2_b32 s19, s19, exec_lo
	s_and_b32 s24, vcc_lo, exec_lo
	s_or_b32 s19, s19, s24
; %bb.64:                               ;   in Loop: Header=BB11_62 Depth=3
	s_or_b32 exec_lo, exec_lo, s20
	s_and_saveexec_b32 s20, s19
	s_cbranch_execz .LBB11_61
; %bb.65:                               ;   in Loop: Header=BB11_62 Depth=3
	global_store_dword v[1:2], v5, off
	s_branch .LBB11_61
.LBB11_66:
	s_mov_b32 s6, -1
	s_mov_b32 s5, 0
	s_mov_b32 s4, exec_lo
	s_barrier
	buffer_gl0_inv
	v_cmpx_gt_u32_e64 s21, v41
	s_cbranch_execz .LBB11_72
; %bb.67:
	v_mov_b32_e32 v42, 0
                                        ; implicit-def: $sgpr6
                                        ; implicit-def: $sgpr8
                                        ; implicit-def: $sgpr7
	s_inst_prefetch 0x1
	s_branch .LBB11_69
	.p2align	6
.LBB11_68:                              ;   in Loop: Header=BB11_69 Depth=1
	s_or_b32 exec_lo, exec_lo, s9
	s_xor_b32 s9, s7, -1
	s_and_b32 s10, exec_lo, s8
	s_or_b32 s5, s10, s5
	s_andn2_b32 s6, s6, exec_lo
	s_and_b32 s9, s9, exec_lo
	s_or_b32 s6, s6, s9
	s_andn2_b32 exec_lo, exec_lo, s5
	s_cbranch_execz .LBB11_71
.LBB11_69:                              ; =>This Inner Loop Header: Depth=1
	v_lshlrev_b64 v[0:1], 2, v[41:42]
	s_or_b32 s7, s7, exec_lo
	s_or_b32 s8, s8, exec_lo
	s_mov_b32 s9, exec_lo
	v_add_co_u32 v0, vcc_lo, s28, v0
	v_add_co_ci_u32_e64 v1, null, s34, v1, vcc_lo
	global_load_dword v0, v[0:1], off
	s_waitcnt vmcnt(0)
	v_cmpx_eq_u32_e64 v41, v0
	s_cbranch_execz .LBB11_68
; %bb.70:                               ;   in Loop: Header=BB11_69 Depth=1
	v_add_nc_u32_e32 v41, v41, v3
	s_andn2_b32 s8, s8, exec_lo
	s_andn2_b32 s7, s7, exec_lo
	v_cmp_le_u32_e32 vcc_lo, s21, v41
	s_and_b32 s10, vcc_lo, exec_lo
	s_or_b32 s8, s8, s10
	s_branch .LBB11_68
.LBB11_71:
	s_inst_prefetch 0x2
	s_or_b32 exec_lo, exec_lo, s5
	s_mov_b32 s5, exec_lo
	s_orn2_b32 s6, s6, exec_lo
.LBB11_72:
	s_or_b32 exec_lo, exec_lo, s4
	s_and_saveexec_b32 s4, s6
	s_cbranch_execz .LBB11_74
; %bb.73:
	s_andn2_b32 s5, s5, exec_lo
	s_barrier
	buffer_gl0_inv
	s_barrier
	buffer_gl0_inv
.LBB11_74:
	s_or_b32 exec_lo, exec_lo, s4
	s_mov_b32 s4, s25
	s_and_saveexec_b32 s6, s5
	s_xor_b32 s21, exec_lo, s6
	s_cbranch_execz .LBB11_76
; %bb.75:
	s_add_u32 s8, s22, 0x58
	s_addc_u32 s9, s23, 0
	s_getpc_b64 s[4:5]
	s_add_u32 s4, s4, .str.10@rel32@lo+4
	s_addc_u32 s5, s5, .str.10@rel32@hi+12
	s_getpc_b64 s[6:7]
	s_add_u32 s6, s6, .str.5@rel32@lo+4
	s_addc_u32 s7, s7, .str.5@rel32@hi+12
	s_getpc_b64 s[10:11]
	s_add_u32 s10, s10, __PRETTY_FUNCTION__._ZN9rocsolver6v33100L18syevx_permute_swapIfEEviiiPiPT_iS2_@rel32@lo+4
	s_addc_u32 s11, s11, __PRETTY_FUNCTION__._ZN9rocsolver6v33100L18syevx_permute_swapIfEEviiiPiPT_iS2_@rel32@hi+12
	v_mov_b32_e32 v0, s4
	v_mov_b32_e32 v1, s5
	v_mov_b32_e32 v2, s6
	v_mov_b32_e32 v3, s7
	v_mov_b32_e32 v4, 0x7a
	v_mov_b32_e32 v5, s10
	v_mov_b32_e32 v6, s11
	s_getpc_b64 s[12:13]
	s_add_u32 s12, s12, __assert_fail@rel32@lo+4
	s_addc_u32 s13, s13, __assert_fail@rel32@hi+12
	s_swappc_b64 s[30:31], s[12:13]
	s_or_b32 s4, s25, exec_lo
.LBB11_76:
	s_or_b32 exec_lo, exec_lo, s21
	s_andn2_b32 s5, s25, exec_lo
	s_and_b32 s4, s4, exec_lo
	s_or_b32 s25, s5, s4
.LBB11_77:
	s_or_b32 exec_lo, exec_lo, s37
	s_branch .LBB11_79
.LBB11_78:
	s_add_u32 s8, s22, 0x58
	s_addc_u32 s9, s23, 0
	s_getpc_b64 s[4:5]
	s_add_u32 s4, s4, .str.6@rel32@lo+4
	s_addc_u32 s5, s5, .str.6@rel32@hi+12
	s_getpc_b64 s[6:7]
	s_add_u32 s6, s6, .str.5@rel32@lo+4
	s_addc_u32 s7, s7, .str.5@rel32@hi+12
	s_getpc_b64 s[10:11]
	s_add_u32 s10, s10, __PRETTY_FUNCTION__._ZN9rocsolver6v33100L15syevx_sort_eigsIffPfEEviPiPT0_lT1_iilS3_lS3_S3_@rel32@lo+4
	s_addc_u32 s11, s11, __PRETTY_FUNCTION__._ZN9rocsolver6v33100L15syevx_sort_eigsIffPfEEviPiPT0_lT1_iilS3_lS3_S3_@rel32@hi+12
	v_mov_b32_e32 v0, s4
	v_mov_b32_e32 v1, s5
	;; [unrolled: 1-line block ×7, first 2 shown]
	s_getpc_b64 s[12:13]
	s_add_u32 s12, s12, __assert_fail@rel32@lo+4
	s_addc_u32 s13, s13, __assert_fail@rel32@hi+12
	s_swappc_b64 s[30:31], s[12:13]
	s_or_b32 s25, s25, exec_lo
.LBB11_79:
	s_branch .LBB11_4
.LBB11_80:
	s_add_u32 s8, s22, 0x58
	s_addc_u32 s9, s23, 0
	s_getpc_b64 s[4:5]
	s_add_u32 s4, s4, .str.4@rel32@lo+4
	s_addc_u32 s5, s5, .str.4@rel32@hi+12
	s_getpc_b64 s[6:7]
	s_add_u32 s6, s6, .str.5@rel32@lo+4
	s_addc_u32 s7, s7, .str.5@rel32@hi+12
	s_getpc_b64 s[10:11]
	s_add_u32 s10, s10, __PRETTY_FUNCTION__._ZN9rocsolver6v33100L15syevx_sort_eigsIffPfEEviPiPT0_lT1_iilS3_lS3_S3_@rel32@lo+4
	s_addc_u32 s11, s11, __PRETTY_FUNCTION__._ZN9rocsolver6v33100L15syevx_sort_eigsIffPfEEviPiPT0_lT1_iilS3_lS3_S3_@rel32@hi+12
	v_mov_b32_e32 v0, s4
	v_mov_b32_e32 v1, s5
	;; [unrolled: 1-line block ×7, first 2 shown]
	s_getpc_b64 s[12:13]
	s_add_u32 s12, s12, __assert_fail@rel32@lo+4
	s_addc_u32 s13, s13, __assert_fail@rel32@hi+12
	s_swappc_b64 s[30:31], s[12:13]
	s_or_b32 s25, s25, exec_lo
	s_and_saveexec_b32 s4, s25
	s_cbranch_execz .LBB11_5
.LBB11_81:
	; divergent unreachable
	s_endpgm
	.section	.rodata,"a",@progbits
	.p2align	6, 0x0
	.amdhsa_kernel _ZN9rocsolver6v33100L15syevx_sort_eigsIffPfEEviPiPT0_lT1_iilS3_lS3_S3_
		.amdhsa_group_segment_fixed_size 0
		.amdhsa_private_segment_fixed_size 64
		.amdhsa_kernarg_size 344
		.amdhsa_user_sgpr_count 8
		.amdhsa_user_sgpr_private_segment_buffer 1
		.amdhsa_user_sgpr_dispatch_ptr 0
		.amdhsa_user_sgpr_queue_ptr 0
		.amdhsa_user_sgpr_kernarg_segment_ptr 1
		.amdhsa_user_sgpr_dispatch_id 0
		.amdhsa_user_sgpr_flat_scratch_init 1
		.amdhsa_user_sgpr_private_segment_size 0
		.amdhsa_wavefront_size32 1
		.amdhsa_uses_dynamic_stack 0
		.amdhsa_system_sgpr_private_segment_wavefront_offset 1
		.amdhsa_system_sgpr_workgroup_id_x 1
		.amdhsa_system_sgpr_workgroup_id_y 1
		.amdhsa_system_sgpr_workgroup_id_z 0
		.amdhsa_system_sgpr_workgroup_info 0
		.amdhsa_system_vgpr_workitem_id 2
		.amdhsa_next_free_vgpr 52
		.amdhsa_next_free_sgpr 52
		.amdhsa_reserve_vcc 1
		.amdhsa_reserve_flat_scratch 1
		.amdhsa_float_round_mode_32 0
		.amdhsa_float_round_mode_16_64 0
		.amdhsa_float_denorm_mode_32 3
		.amdhsa_float_denorm_mode_16_64 3
		.amdhsa_dx10_clamp 1
		.amdhsa_ieee_mode 1
		.amdhsa_fp16_overflow 0
		.amdhsa_workgroup_processor_mode 1
		.amdhsa_memory_ordered 1
		.amdhsa_forward_progress 1
		.amdhsa_shared_vgpr_count 0
		.amdhsa_exception_fp_ieee_invalid_op 0
		.amdhsa_exception_fp_denorm_src 0
		.amdhsa_exception_fp_ieee_div_zero 0
		.amdhsa_exception_fp_ieee_overflow 0
		.amdhsa_exception_fp_ieee_underflow 0
		.amdhsa_exception_fp_ieee_inexact 0
		.amdhsa_exception_int_div_zero 0
	.end_amdhsa_kernel
	.section	.text._ZN9rocsolver6v33100L15syevx_sort_eigsIffPfEEviPiPT0_lT1_iilS3_lS3_S3_,"axG",@progbits,_ZN9rocsolver6v33100L15syevx_sort_eigsIffPfEEviPiPT0_lT1_iilS3_lS3_S3_,comdat
.Lfunc_end11:
	.size	_ZN9rocsolver6v33100L15syevx_sort_eigsIffPfEEviPiPT0_lT1_iilS3_lS3_S3_, .Lfunc_end11-_ZN9rocsolver6v33100L15syevx_sort_eigsIffPfEEviPiPT0_lT1_iilS3_lS3_S3_
                                        ; -- End function
	.set _ZN9rocsolver6v33100L15syevx_sort_eigsIffPfEEviPiPT0_lT1_iilS3_lS3_S3_.num_vgpr, max(45, .L__assert_fail.num_vgpr)
	.set _ZN9rocsolver6v33100L15syevx_sort_eigsIffPfEEviPiPT0_lT1_iilS3_lS3_S3_.num_agpr, max(0, .L__assert_fail.num_agpr)
	.set _ZN9rocsolver6v33100L15syevx_sort_eigsIffPfEEviPiPT0_lT1_iilS3_lS3_S3_.numbered_sgpr, max(52, .L__assert_fail.numbered_sgpr)
	.set _ZN9rocsolver6v33100L15syevx_sort_eigsIffPfEEviPiPT0_lT1_iilS3_lS3_S3_.num_named_barrier, max(0, .L__assert_fail.num_named_barrier)
	.set _ZN9rocsolver6v33100L15syevx_sort_eigsIffPfEEviPiPT0_lT1_iilS3_lS3_S3_.private_seg_size, 0+max(.L__assert_fail.private_seg_size)
	.set _ZN9rocsolver6v33100L15syevx_sort_eigsIffPfEEviPiPT0_lT1_iilS3_lS3_S3_.uses_vcc, or(1, .L__assert_fail.uses_vcc)
	.set _ZN9rocsolver6v33100L15syevx_sort_eigsIffPfEEviPiPT0_lT1_iilS3_lS3_S3_.uses_flat_scratch, or(1, .L__assert_fail.uses_flat_scratch)
	.set _ZN9rocsolver6v33100L15syevx_sort_eigsIffPfEEviPiPT0_lT1_iilS3_lS3_S3_.has_dyn_sized_stack, or(0, .L__assert_fail.has_dyn_sized_stack)
	.set _ZN9rocsolver6v33100L15syevx_sort_eigsIffPfEEviPiPT0_lT1_iilS3_lS3_S3_.has_recursion, or(0, .L__assert_fail.has_recursion)
	.set _ZN9rocsolver6v33100L15syevx_sort_eigsIffPfEEviPiPT0_lT1_iilS3_lS3_S3_.has_indirect_call, or(0, .L__assert_fail.has_indirect_call)
	.section	.AMDGPU.csdata,"",@progbits
; Kernel info:
; codeLenInByte = 2940
; TotalNumSgprs: 54
; NumVgprs: 52
; ScratchSize: 64
; MemoryBound: 0
; FloatMode: 240
; IeeeMode: 1
; LDSByteSize: 0 bytes/workgroup (compile time only)
; SGPRBlocks: 0
; VGPRBlocks: 6
; NumSGPRsForWavesPerEU: 54
; NumVGPRsForWavesPerEU: 52
; Occupancy: 16
; WaveLimiterHint : 1
; COMPUTE_PGM_RSRC2:SCRATCH_EN: 1
; COMPUTE_PGM_RSRC2:USER_SGPR: 8
; COMPUTE_PGM_RSRC2:TRAP_HANDLER: 0
; COMPUTE_PGM_RSRC2:TGID_X_EN: 1
; COMPUTE_PGM_RSRC2:TGID_Y_EN: 1
; COMPUTE_PGM_RSRC2:TGID_Z_EN: 0
; COMPUTE_PGM_RSRC2:TIDIG_COMP_CNT: 2
	.section	.text._ZN9rocsolver6v33100L19bdsvdx_reorder_vectIfPfEEv13rocblas_fill_iPiPT_lT0_iilS6_,"axG",@progbits,_ZN9rocsolver6v33100L19bdsvdx_reorder_vectIfPfEEv13rocblas_fill_iPiPT_lT0_iilS6_,comdat
	.globl	_ZN9rocsolver6v33100L19bdsvdx_reorder_vectIfPfEEv13rocblas_fill_iPiPT_lT0_iilS6_ ; -- Begin function _ZN9rocsolver6v33100L19bdsvdx_reorder_vectIfPfEEv13rocblas_fill_iPiPT_lT0_iilS6_
	.p2align	8
	.type	_ZN9rocsolver6v33100L19bdsvdx_reorder_vectIfPfEEv13rocblas_fill_iPiPT_lT0_iilS6_,@function
_ZN9rocsolver6v33100L19bdsvdx_reorder_vectIfPfEEv13rocblas_fill_iPiPT_lT0_iilS6_: ; @_ZN9rocsolver6v33100L19bdsvdx_reorder_vectIfPfEEv13rocblas_fill_iPiPT_lT0_iilS6_
; %bb.0:
	s_load_dwordx8 s[8:15], s[4:5], 0x8
	s_mov_b32 s20, s7
	s_ashr_i32 s21, s7, 31
	s_lshl_b64 s[0:1], s[20:21], 2
	s_waitcnt lgkmcnt(0)
	s_add_u32 s0, s8, s0
	s_addc_u32 s1, s9, s1
	s_load_dwordx2 s[2:3], s[4:5], 0x0
	s_load_dword s8, s[0:1], 0x0
	s_waitcnt lgkmcnt(0)
	s_cmp_le_i32 s8, s3
	s_cbranch_scc1 .LBB12_4
; %bb.1:
	s_mov_b32 s6, exec_lo
	v_cmpx_eq_u32_e32 0, v0
	s_cbranch_execz .LBB12_3
; %bb.2:
	v_mov_b32_e32 v1, 0
	v_mov_b32_e32 v2, s3
	global_store_dword v1, v2, s[0:1]
.LBB12_3:
	s_or_b32 exec_lo, exec_lo, s6
	s_mov_b32 s8, s3
.LBB12_4:
	s_load_dwordx4 s[16:19], s[4:5], 0x30
	s_mul_i32 s0, s20, s3
	s_lshl_b32 s0, s0, 1
	s_ashr_i32 s1, s0, 31
	s_lshl_b64 s[0:1], s[0:1], 2
	s_waitcnt lgkmcnt(0)
	s_add_u32 s9, s18, s0
	s_addc_u32 s18, s19, s1
	s_mov_b32 s1, exec_lo
	v_cmpx_gt_i32_e64 s8, v0
	s_cbranch_execz .LBB12_7
; %bb.5:
	s_load_dword s0, s[4:5], 0x4c
	s_mul_i32 s6, s12, s21
	s_mul_hi_u32 s7, s12, s20
	s_mul_i32 s13, s13, s20
	s_add_i32 s7, s7, s6
	s_mul_i32 s6, s12, s20
	s_add_i32 s7, s7, s13
	v_mov_b32_e32 v1, v0
	s_lshl_b64 s[6:7], s[6:7], 2
	s_add_u32 s6, s10, s6
	s_addc_u32 s7, s11, s7
	s_mov_b32 s11, 0
	s_waitcnt lgkmcnt(0)
	s_and_b32 s10, s0, 0xffff
	.p2align	6
.LBB12_6:                               ; =>This Inner Loop Header: Depth=1
	v_ashrrev_i32_e32 v2, 31, v1
	v_lshlrev_b64 v[2:3], 2, v[1:2]
	v_add_nc_u32_e32 v1, s10, v1
	v_add_co_u32 v4, vcc_lo, s9, v2
	v_add_co_ci_u32_e64 v5, null, s18, v3, vcc_lo
	v_cmp_le_i32_e32 vcc_lo, s8, v1
	v_add_co_u32 v2, s0, s6, v2
	global_load_dword v4, v[4:5], off
	v_add_co_ci_u32_e64 v3, null, s7, v3, s0
	s_or_b32 s11, vcc_lo, s11
	s_waitcnt vmcnt(0)
	v_xor_b32_e32 v4, 0x80000000, v4
	global_store_dword v[2:3], v4, off
	s_andn2_b32 exec_lo, exec_lo, s11
	s_cbranch_execnz .LBB12_6
.LBB12_7:
	s_or_b32 exec_lo, exec_lo, s1
	s_cmp_lt_i32 s8, 1
	s_waitcnt_vscnt null, 0x0
	s_barrier
	buffer_gl0_inv
	s_cbranch_scc1 .LBB12_23
; %bb.8:
	s_load_dwordx2 s[6:7], s[4:5], 0x28
	s_mul_i32 s0, s16, s21
	s_mul_hi_u32 s1, s16, s20
	s_mul_i32 s11, s17, s20
	s_add_i32 s0, s1, s0
	s_mul_i32 s10, s16, s20
	s_add_i32 s11, s0, s11
	v_cmp_gt_i32_e64 s0, s3, v0
	s_lshl_b64 s[10:11], s[10:11], 2
	v_lshlrev_b32_e32 v3, 1, v0
	s_waitcnt lgkmcnt(0)
	s_ashr_i32 s13, s6, 31
	s_mov_b32 s12, s6
	s_add_u32 s1, s14, s10
	s_addc_u32 s14, s15, s11
	s_lshl_b64 s[10:11], s[12:13], 2
	s_mov_b32 s13, 0
	s_add_u32 s6, s1, s10
	s_addc_u32 s10, s14, s11
	s_lshl_b32 s11, s3, 1
	s_add_u32 s4, s4, 64
	s_addc_u32 s5, s5, 0
	v_cmp_gt_i32_e64 s1, s11, v0
	s_cmpk_lg_i32 s2, 0x79
	s_mov_b32 s14, s3
	s_cselect_b32 s12, -1, 0
	s_mov_b32 s15, 0
	s_branch .LBB12_11
.LBB12_9:                               ;   in Loop: Header=BB12_11 Depth=1
	s_inst_prefetch 0x2
	s_or_b32 exec_lo, exec_lo, s16
.LBB12_10:                              ;   in Loop: Header=BB12_11 Depth=1
	s_add_i32 s15, s15, 1
	s_add_i32 s13, s13, s7
	;; [unrolled: 1-line block ×3, first 2 shown]
	s_cmp_lg_u32 s15, s8
	s_waitcnt_vscnt null, 0x0
	s_barrier
	buffer_gl0_inv
	s_cbranch_scc0 .LBB12_23
.LBB12_11:                              ; =>This Loop Header: Depth=1
                                        ;     Child Loop BB12_13 Depth 2
                                        ;     Child Loop BB12_17 Depth 2
	;; [unrolled: 1-line block ×3, first 2 shown]
	s_and_saveexec_b32 s16, s1
	s_cbranch_execz .LBB12_14
; %bb.12:                               ;   in Loop: Header=BB12_11 Depth=1
	s_load_dword s2, s[4:5], 0xc
	v_mov_b32_e32 v1, v0
	s_mov_b32 s19, 0
	s_waitcnt lgkmcnt(0)
	s_and_b32 s17, s2, 0xffff
	.p2align	6
.LBB12_13:                              ;   Parent Loop BB12_11 Depth=1
                                        ; =>  This Inner Loop Header: Depth=2
	v_add_nc_u32_e32 v4, s13, v1
	v_ashrrev_i32_e32 v2, 31, v1
	v_ashrrev_i32_e32 v5, 31, v4
	v_lshlrev_b64 v[4:5], 2, v[4:5]
	v_add_co_u32 v4, vcc_lo, s6, v4
	v_add_co_ci_u32_e64 v5, null, s10, v5, vcc_lo
	global_load_dword v6, v[4:5], off
	v_lshlrev_b64 v[4:5], 2, v[1:2]
	v_add_nc_u32_e32 v1, s17, v1
	v_cmp_le_i32_e32 vcc_lo, s11, v1
	v_add_co_u32 v4, s2, s9, v4
	v_add_co_ci_u32_e64 v5, null, s18, v5, s2
	s_or_b32 s19, vcc_lo, s19
	s_waitcnt vmcnt(0)
	global_store_dword v[4:5], v6, off
	s_andn2_b32 exec_lo, exec_lo, s19
	s_cbranch_execnz .LBB12_13
.LBB12_14:                              ;   in Loop: Header=BB12_11 Depth=1
	s_or_b32 exec_lo, exec_lo, s16
	s_andn2_b32 vcc_lo, exec_lo, s12
	s_mov_b32 s2, -1
	s_waitcnt_vscnt null, 0x0
	s_barrier
	buffer_gl0_inv
	s_cbranch_vccnz .LBB12_19
; %bb.15:                               ;   in Loop: Header=BB12_11 Depth=1
	s_and_saveexec_b32 s16, s0
	s_cbranch_execz .LBB12_18
; %bb.16:                               ;   in Loop: Header=BB12_11 Depth=1
	s_load_dword s2, s[4:5], 0xc
	v_mov_b32_e32 v1, v3
	v_mov_b32_e32 v4, v0
	s_mov_b32 s20, 0
	s_waitcnt lgkmcnt(0)
	s_and_b32 s17, s2, 0xffff
	s_lshl_b32 s19, s17, 1
	s_inst_prefetch 0x1
	.p2align	6
.LBB12_17:                              ;   Parent Loop BB12_11 Depth=1
                                        ; =>  This Inner Loop Header: Depth=2
	v_ashrrev_i32_e32 v2, 31, v1
	v_add_nc_u32_e32 v7, s13, v4
	v_lshlrev_b64 v[5:6], 2, v[1:2]
	v_ashrrev_i32_e32 v8, 31, v7
	v_add_nc_u32_e32 v1, s19, v1
	v_lshlrev_b64 v[7:8], 2, v[7:8]
	v_add_co_u32 v5, vcc_lo, s9, v5
	v_add_co_ci_u32_e64 v6, null, s18, v6, vcc_lo
	v_add_co_u32 v7, vcc_lo, s6, v7
	global_load_dword v2, v[5:6], off
	v_add_co_ci_u32_e64 v8, null, s10, v8, vcc_lo
	s_waitcnt vmcnt(0)
	v_mul_f32_e32 v2, 0x3fb504f3, v2
	global_store_dword v[7:8], v2, off
	global_load_dword v2, v[5:6], off offset:4
	v_add_nc_u32_e32 v5, s14, v4
	v_add_nc_u32_e32 v4, s17, v4
	v_ashrrev_i32_e32 v6, 31, v5
	v_cmp_le_i32_e32 vcc_lo, s3, v4
	v_lshlrev_b64 v[5:6], 2, v[5:6]
	s_or_b32 s20, vcc_lo, s20
	v_add_co_u32 v5, s2, s6, v5
	v_add_co_ci_u32_e64 v6, null, s10, v6, s2
	s_waitcnt vmcnt(0)
	v_mul_f32_e32 v2, 0xbfb504f3, v2
	global_store_dword v[5:6], v2, off
	s_andn2_b32 exec_lo, exec_lo, s20
	s_cbranch_execnz .LBB12_17
.LBB12_18:                              ;   in Loop: Header=BB12_11 Depth=1
	s_inst_prefetch 0x2
	s_or_b32 exec_lo, exec_lo, s16
	s_mov_b32 s2, 0
.LBB12_19:                              ;   in Loop: Header=BB12_11 Depth=1
	s_andn2_b32 vcc_lo, exec_lo, s2
	s_cbranch_vccnz .LBB12_10
; %bb.20:                               ;   in Loop: Header=BB12_11 Depth=1
	s_and_saveexec_b32 s16, s0
	s_cbranch_execz .LBB12_9
; %bb.21:                               ;   in Loop: Header=BB12_11 Depth=1
	s_load_dword s2, s[4:5], 0xc
	v_mov_b32_e32 v1, v3
	v_mov_b32_e32 v4, v0
	s_mov_b32 s20, 0
	s_waitcnt lgkmcnt(0)
	s_and_b32 s17, s2, 0xffff
	s_lshl_b32 s19, s17, 1
	s_inst_prefetch 0x1
	.p2align	6
.LBB12_22:                              ;   Parent Loop BB12_11 Depth=1
                                        ; =>  This Inner Loop Header: Depth=2
	v_ashrrev_i32_e32 v2, 31, v1
	v_add_nc_u32_e32 v7, s13, v4
	v_lshlrev_b64 v[5:6], 2, v[1:2]
	v_ashrrev_i32_e32 v8, 31, v7
	v_add_nc_u32_e32 v1, s19, v1
	v_lshlrev_b64 v[7:8], 2, v[7:8]
	v_add_co_u32 v5, vcc_lo, s9, v5
	v_add_co_ci_u32_e64 v6, null, s18, v6, vcc_lo
	v_add_co_u32 v7, vcc_lo, s6, v7
	global_load_dword v2, v[5:6], off offset:4
	v_add_co_ci_u32_e64 v8, null, s10, v8, vcc_lo
	s_waitcnt vmcnt(0)
	v_mul_f32_e32 v2, 0x3fb504f3, v2
	global_store_dword v[7:8], v2, off
	global_load_dword v2, v[5:6], off
	v_add_nc_u32_e32 v5, s14, v4
	v_add_nc_u32_e32 v4, s17, v4
	v_ashrrev_i32_e32 v6, 31, v5
	v_cmp_le_i32_e32 vcc_lo, s3, v4
	v_lshlrev_b64 v[5:6], 2, v[5:6]
	s_or_b32 s20, vcc_lo, s20
	v_add_co_u32 v5, s2, s6, v5
	v_add_co_ci_u32_e64 v6, null, s10, v6, s2
	s_waitcnt vmcnt(0)
	v_mul_f32_e32 v2, 0xbfb504f3, v2
	global_store_dword v[5:6], v2, off
	s_andn2_b32 exec_lo, exec_lo, s20
	s_cbranch_execnz .LBB12_22
	s_branch .LBB12_9
.LBB12_23:
	s_endpgm
	.section	.rodata,"a",@progbits
	.p2align	6, 0x0
	.amdhsa_kernel _ZN9rocsolver6v33100L19bdsvdx_reorder_vectIfPfEEv13rocblas_fill_iPiPT_lT0_iilS6_
		.amdhsa_group_segment_fixed_size 0
		.amdhsa_private_segment_fixed_size 0
		.amdhsa_kernarg_size 320
		.amdhsa_user_sgpr_count 6
		.amdhsa_user_sgpr_private_segment_buffer 1
		.amdhsa_user_sgpr_dispatch_ptr 0
		.amdhsa_user_sgpr_queue_ptr 0
		.amdhsa_user_sgpr_kernarg_segment_ptr 1
		.amdhsa_user_sgpr_dispatch_id 0
		.amdhsa_user_sgpr_flat_scratch_init 0
		.amdhsa_user_sgpr_private_segment_size 0
		.amdhsa_wavefront_size32 1
		.amdhsa_uses_dynamic_stack 0
		.amdhsa_system_sgpr_private_segment_wavefront_offset 0
		.amdhsa_system_sgpr_workgroup_id_x 1
		.amdhsa_system_sgpr_workgroup_id_y 1
		.amdhsa_system_sgpr_workgroup_id_z 0
		.amdhsa_system_sgpr_workgroup_info 0
		.amdhsa_system_vgpr_workitem_id 0
		.amdhsa_next_free_vgpr 9
		.amdhsa_next_free_sgpr 22
		.amdhsa_reserve_vcc 1
		.amdhsa_reserve_flat_scratch 0
		.amdhsa_float_round_mode_32 0
		.amdhsa_float_round_mode_16_64 0
		.amdhsa_float_denorm_mode_32 3
		.amdhsa_float_denorm_mode_16_64 3
		.amdhsa_dx10_clamp 1
		.amdhsa_ieee_mode 1
		.amdhsa_fp16_overflow 0
		.amdhsa_workgroup_processor_mode 1
		.amdhsa_memory_ordered 1
		.amdhsa_forward_progress 1
		.amdhsa_shared_vgpr_count 0
		.amdhsa_exception_fp_ieee_invalid_op 0
		.amdhsa_exception_fp_denorm_src 0
		.amdhsa_exception_fp_ieee_div_zero 0
		.amdhsa_exception_fp_ieee_overflow 0
		.amdhsa_exception_fp_ieee_underflow 0
		.amdhsa_exception_fp_ieee_inexact 0
		.amdhsa_exception_int_div_zero 0
	.end_amdhsa_kernel
	.section	.text._ZN9rocsolver6v33100L19bdsvdx_reorder_vectIfPfEEv13rocblas_fill_iPiPT_lT0_iilS6_,"axG",@progbits,_ZN9rocsolver6v33100L19bdsvdx_reorder_vectIfPfEEv13rocblas_fill_iPiPT_lT0_iilS6_,comdat
.Lfunc_end12:
	.size	_ZN9rocsolver6v33100L19bdsvdx_reorder_vectIfPfEEv13rocblas_fill_iPiPT_lT0_iilS6_, .Lfunc_end12-_ZN9rocsolver6v33100L19bdsvdx_reorder_vectIfPfEEv13rocblas_fill_iPiPT_lT0_iilS6_
                                        ; -- End function
	.set _ZN9rocsolver6v33100L19bdsvdx_reorder_vectIfPfEEv13rocblas_fill_iPiPT_lT0_iilS6_.num_vgpr, 9
	.set _ZN9rocsolver6v33100L19bdsvdx_reorder_vectIfPfEEv13rocblas_fill_iPiPT_lT0_iilS6_.num_agpr, 0
	.set _ZN9rocsolver6v33100L19bdsvdx_reorder_vectIfPfEEv13rocblas_fill_iPiPT_lT0_iilS6_.numbered_sgpr, 22
	.set _ZN9rocsolver6v33100L19bdsvdx_reorder_vectIfPfEEv13rocblas_fill_iPiPT_lT0_iilS6_.num_named_barrier, 0
	.set _ZN9rocsolver6v33100L19bdsvdx_reorder_vectIfPfEEv13rocblas_fill_iPiPT_lT0_iilS6_.private_seg_size, 0
	.set _ZN9rocsolver6v33100L19bdsvdx_reorder_vectIfPfEEv13rocblas_fill_iPiPT_lT0_iilS6_.uses_vcc, 1
	.set _ZN9rocsolver6v33100L19bdsvdx_reorder_vectIfPfEEv13rocblas_fill_iPiPT_lT0_iilS6_.uses_flat_scratch, 0
	.set _ZN9rocsolver6v33100L19bdsvdx_reorder_vectIfPfEEv13rocblas_fill_iPiPT_lT0_iilS6_.has_dyn_sized_stack, 0
	.set _ZN9rocsolver6v33100L19bdsvdx_reorder_vectIfPfEEv13rocblas_fill_iPiPT_lT0_iilS6_.has_recursion, 0
	.set _ZN9rocsolver6v33100L19bdsvdx_reorder_vectIfPfEEv13rocblas_fill_iPiPT_lT0_iilS6_.has_indirect_call, 0
	.section	.AMDGPU.csdata,"",@progbits
; Kernel info:
; codeLenInByte = 1268
; TotalNumSgprs: 24
; NumVgprs: 9
; ScratchSize: 0
; MemoryBound: 0
; FloatMode: 240
; IeeeMode: 1
; LDSByteSize: 0 bytes/workgroup (compile time only)
; SGPRBlocks: 0
; VGPRBlocks: 1
; NumSGPRsForWavesPerEU: 24
; NumVGPRsForWavesPerEU: 9
; Occupancy: 16
; WaveLimiterHint : 0
; COMPUTE_PGM_RSRC2:SCRATCH_EN: 0
; COMPUTE_PGM_RSRC2:USER_SGPR: 6
; COMPUTE_PGM_RSRC2:TRAP_HANDLER: 0
; COMPUTE_PGM_RSRC2:TGID_X_EN: 1
; COMPUTE_PGM_RSRC2:TGID_Y_EN: 1
; COMPUTE_PGM_RSRC2:TGID_Z_EN: 0
; COMPUTE_PGM_RSRC2:TIDIG_COMP_CNT: 0
	.section	.text._ZN9rocsolver6v33100L10reset_infoIdiiEEvPT_T0_T1_S4_,"axG",@progbits,_ZN9rocsolver6v33100L10reset_infoIdiiEEvPT_T0_T1_S4_,comdat
	.globl	_ZN9rocsolver6v33100L10reset_infoIdiiEEvPT_T0_T1_S4_ ; -- Begin function _ZN9rocsolver6v33100L10reset_infoIdiiEEvPT_T0_T1_S4_
	.p2align	8
	.type	_ZN9rocsolver6v33100L10reset_infoIdiiEEvPT_T0_T1_S4_,@function
_ZN9rocsolver6v33100L10reset_infoIdiiEEvPT_T0_T1_S4_: ; @_ZN9rocsolver6v33100L10reset_infoIdiiEEvPT_T0_T1_S4_
; %bb.0:
	s_clause 0x1
	s_load_dword s7, s[4:5], 0x24
	s_load_dwordx4 s[0:3], s[4:5], 0x8
	s_waitcnt lgkmcnt(0)
	s_and_b32 s3, s7, 0xffff
	v_mad_u64_u32 v[0:1], null, s6, s3, v[0:1]
	v_cmp_gt_i32_e32 vcc_lo, s0, v0
	s_and_saveexec_b32 s0, vcc_lo
	s_cbranch_execz .LBB13_2
; %bb.1:
	v_mul_lo_u32 v3, v0, s2
	v_cvt_f64_i32_e32 v[1:2], s1
	s_load_dwordx2 s[0:1], s[4:5], 0x0
	v_cvt_f64_i32_e32 v[3:4], v3
	v_add_f64 v[2:3], v[1:2], v[3:4]
	v_ashrrev_i32_e32 v1, 31, v0
	v_lshlrev_b64 v[0:1], 3, v[0:1]
	s_waitcnt lgkmcnt(0)
	v_add_co_u32 v0, vcc_lo, s0, v0
	v_add_co_ci_u32_e64 v1, null, s1, v1, vcc_lo
	global_store_dwordx2 v[0:1], v[2:3], off
.LBB13_2:
	s_endpgm
	.section	.rodata,"a",@progbits
	.p2align	6, 0x0
	.amdhsa_kernel _ZN9rocsolver6v33100L10reset_infoIdiiEEvPT_T0_T1_S4_
		.amdhsa_group_segment_fixed_size 0
		.amdhsa_private_segment_fixed_size 0
		.amdhsa_kernarg_size 280
		.amdhsa_user_sgpr_count 6
		.amdhsa_user_sgpr_private_segment_buffer 1
		.amdhsa_user_sgpr_dispatch_ptr 0
		.amdhsa_user_sgpr_queue_ptr 0
		.amdhsa_user_sgpr_kernarg_segment_ptr 1
		.amdhsa_user_sgpr_dispatch_id 0
		.amdhsa_user_sgpr_flat_scratch_init 0
		.amdhsa_user_sgpr_private_segment_size 0
		.amdhsa_wavefront_size32 1
		.amdhsa_uses_dynamic_stack 0
		.amdhsa_system_sgpr_private_segment_wavefront_offset 0
		.amdhsa_system_sgpr_workgroup_id_x 1
		.amdhsa_system_sgpr_workgroup_id_y 0
		.amdhsa_system_sgpr_workgroup_id_z 0
		.amdhsa_system_sgpr_workgroup_info 0
		.amdhsa_system_vgpr_workitem_id 0
		.amdhsa_next_free_vgpr 5
		.amdhsa_next_free_sgpr 8
		.amdhsa_reserve_vcc 1
		.amdhsa_reserve_flat_scratch 0
		.amdhsa_float_round_mode_32 0
		.amdhsa_float_round_mode_16_64 0
		.amdhsa_float_denorm_mode_32 3
		.amdhsa_float_denorm_mode_16_64 3
		.amdhsa_dx10_clamp 1
		.amdhsa_ieee_mode 1
		.amdhsa_fp16_overflow 0
		.amdhsa_workgroup_processor_mode 1
		.amdhsa_memory_ordered 1
		.amdhsa_forward_progress 1
		.amdhsa_shared_vgpr_count 0
		.amdhsa_exception_fp_ieee_invalid_op 0
		.amdhsa_exception_fp_denorm_src 0
		.amdhsa_exception_fp_ieee_div_zero 0
		.amdhsa_exception_fp_ieee_overflow 0
		.amdhsa_exception_fp_ieee_underflow 0
		.amdhsa_exception_fp_ieee_inexact 0
		.amdhsa_exception_int_div_zero 0
	.end_amdhsa_kernel
	.section	.text._ZN9rocsolver6v33100L10reset_infoIdiiEEvPT_T0_T1_S4_,"axG",@progbits,_ZN9rocsolver6v33100L10reset_infoIdiiEEvPT_T0_T1_S4_,comdat
.Lfunc_end13:
	.size	_ZN9rocsolver6v33100L10reset_infoIdiiEEvPT_T0_T1_S4_, .Lfunc_end13-_ZN9rocsolver6v33100L10reset_infoIdiiEEvPT_T0_T1_S4_
                                        ; -- End function
	.set _ZN9rocsolver6v33100L10reset_infoIdiiEEvPT_T0_T1_S4_.num_vgpr, 5
	.set _ZN9rocsolver6v33100L10reset_infoIdiiEEvPT_T0_T1_S4_.num_agpr, 0
	.set _ZN9rocsolver6v33100L10reset_infoIdiiEEvPT_T0_T1_S4_.numbered_sgpr, 8
	.set _ZN9rocsolver6v33100L10reset_infoIdiiEEvPT_T0_T1_S4_.num_named_barrier, 0
	.set _ZN9rocsolver6v33100L10reset_infoIdiiEEvPT_T0_T1_S4_.private_seg_size, 0
	.set _ZN9rocsolver6v33100L10reset_infoIdiiEEvPT_T0_T1_S4_.uses_vcc, 1
	.set _ZN9rocsolver6v33100L10reset_infoIdiiEEvPT_T0_T1_S4_.uses_flat_scratch, 0
	.set _ZN9rocsolver6v33100L10reset_infoIdiiEEvPT_T0_T1_S4_.has_dyn_sized_stack, 0
	.set _ZN9rocsolver6v33100L10reset_infoIdiiEEvPT_T0_T1_S4_.has_recursion, 0
	.set _ZN9rocsolver6v33100L10reset_infoIdiiEEvPT_T0_T1_S4_.has_indirect_call, 0
	.section	.AMDGPU.csdata,"",@progbits
; Kernel info:
; codeLenInByte = 128
; TotalNumSgprs: 10
; NumVgprs: 5
; ScratchSize: 0
; MemoryBound: 0
; FloatMode: 240
; IeeeMode: 1
; LDSByteSize: 0 bytes/workgroup (compile time only)
; SGPRBlocks: 0
; VGPRBlocks: 0
; NumSGPRsForWavesPerEU: 10
; NumVGPRsForWavesPerEU: 5
; Occupancy: 16
; WaveLimiterHint : 0
; COMPUTE_PGM_RSRC2:SCRATCH_EN: 0
; COMPUTE_PGM_RSRC2:USER_SGPR: 6
; COMPUTE_PGM_RSRC2:TRAP_HANDLER: 0
; COMPUTE_PGM_RSRC2:TGID_X_EN: 1
; COMPUTE_PGM_RSRC2:TGID_Y_EN: 0
; COMPUTE_PGM_RSRC2:TGID_Z_EN: 0
; COMPUTE_PGM_RSRC2:TIDIG_COMP_CNT: 0
	.section	.text._ZN9rocsolver6v33100L8copy_matIdPdS2_NS0_7no_maskEEEviiT0_iilT1_iilT2_13rocblas_fill_17rocblas_diagonal_,"axG",@progbits,_ZN9rocsolver6v33100L8copy_matIdPdS2_NS0_7no_maskEEEviiT0_iilT1_iilT2_13rocblas_fill_17rocblas_diagonal_,comdat
	.globl	_ZN9rocsolver6v33100L8copy_matIdPdS2_NS0_7no_maskEEEviiT0_iilT1_iilT2_13rocblas_fill_17rocblas_diagonal_ ; -- Begin function _ZN9rocsolver6v33100L8copy_matIdPdS2_NS0_7no_maskEEEviiT0_iilT1_iilT2_13rocblas_fill_17rocblas_diagonal_
	.p2align	8
	.type	_ZN9rocsolver6v33100L8copy_matIdPdS2_NS0_7no_maskEEEviiT0_iilT1_iilT2_13rocblas_fill_17rocblas_diagonal_,@function
_ZN9rocsolver6v33100L8copy_matIdPdS2_NS0_7no_maskEEEviiT0_iilT1_iilT2_13rocblas_fill_17rocblas_diagonal_: ; @_ZN9rocsolver6v33100L8copy_matIdPdS2_NS0_7no_maskEEEviiT0_iilT1_iilT2_13rocblas_fill_17rocblas_diagonal_
; %bb.0:
	s_clause 0x1
	s_load_dword s2, s[4:5], 0x54
	s_load_dwordx2 s[0:1], s[4:5], 0x0
	s_waitcnt lgkmcnt(0)
	s_lshr_b32 s3, s2, 16
	s_and_b32 s2, s2, 0xffff
	v_mad_u64_u32 v[2:3], null, s6, s2, v[0:1]
	v_mad_u64_u32 v[0:1], null, s7, s3, v[1:2]
	v_cmp_gt_u32_e32 vcc_lo, s0, v2
	v_cmp_gt_u32_e64 s0, s1, v0
	s_and_b32 s0, s0, vcc_lo
	s_and_saveexec_b32 s1, s0
	s_cbranch_execz .LBB14_14
; %bb.1:
	s_load_dwordx2 s[2:3], s[4:5], 0x3c
	s_waitcnt lgkmcnt(0)
	s_cmpk_lt_i32 s2, 0x7a
	s_cbranch_scc1 .LBB14_4
; %bb.2:
	s_cmpk_gt_i32 s2, 0x7a
	s_cbranch_scc0 .LBB14_5
; %bb.3:
	s_cmpk_lg_i32 s2, 0x7b
	s_mov_b32 s1, -1
	s_cselect_b32 s6, -1, 0
	s_cbranch_execz .LBB14_6
	s_branch .LBB14_7
.LBB14_4:
	s_mov_b32 s6, 0
	s_mov_b32 s1, 0
	s_cbranch_execnz .LBB14_8
	s_branch .LBB14_10
.LBB14_5:
	s_mov_b32 s1, 0
	s_mov_b32 s6, 0
.LBB14_6:
	v_cmp_gt_u32_e32 vcc_lo, v2, v0
	v_cmp_le_u32_e64 s0, v2, v0
	s_andn2_b32 s1, s1, exec_lo
	s_andn2_b32 s6, s6, exec_lo
	s_and_b32 s7, vcc_lo, exec_lo
	s_and_b32 s0, s0, exec_lo
	s_or_b32 s1, s1, s7
	s_or_b32 s6, s6, s0
.LBB14_7:
	s_branch .LBB14_10
.LBB14_8:
	s_cmpk_eq_i32 s2, 0x79
	s_mov_b32 s6, -1
	s_cbranch_scc0 .LBB14_10
; %bb.9:
	v_cmp_gt_u32_e32 vcc_lo, v0, v2
	v_cmp_le_u32_e64 s0, v0, v2
	s_andn2_b32 s1, s1, exec_lo
	s_and_b32 s2, vcc_lo, exec_lo
	s_orn2_b32 s6, s0, exec_lo
	s_or_b32 s1, s1, s2
.LBB14_10:
	s_and_saveexec_b32 s0, s6
; %bb.11:
	v_cmp_eq_u32_e32 vcc_lo, v2, v0
	s_cmpk_eq_i32 s3, 0x83
	s_cselect_b32 s2, -1, 0
	s_andn2_b32 s1, s1, exec_lo
	s_and_b32 s2, s2, vcc_lo
	s_and_b32 s2, s2, exec_lo
	s_or_b32 s1, s1, s2
; %bb.12:
	s_or_b32 exec_lo, exec_lo, s0
	s_and_b32 exec_lo, exec_lo, s1
	s_cbranch_execz .LBB14_14
; %bb.13:
	s_load_dwordx8 s[12:19], s[4:5], 0x8
	s_waitcnt lgkmcnt(0)
	v_mad_u64_u32 v[3:4], null, v0, s15, v[2:3]
	s_mul_i32 s0, s17, s8
	s_mul_hi_u32 s3, s16, s8
	v_mov_b32_e32 v4, 0
	s_mul_i32 s2, s16, s8
	s_add_i32 s3, s3, s0
	s_ashr_i32 s1, s14, 31
	s_lshl_b64 s[2:3], s[2:3], 3
	s_mov_b32 s0, s14
	v_lshlrev_b64 v[5:6], 3, v[3:4]
	s_add_u32 s2, s12, s2
	s_addc_u32 s3, s13, s3
	s_lshl_b64 s[0:1], s[0:1], 3
	s_add_u32 s0, s2, s0
	s_addc_u32 s1, s3, s1
	v_add_co_u32 v5, vcc_lo, s0, v5
	v_add_co_ci_u32_e64 v6, null, s1, v6, vcc_lo
	s_load_dwordx4 s[0:3], s[4:5], 0x28
	global_load_dwordx2 v[5:6], v[5:6], off
	s_waitcnt lgkmcnt(0)
	v_mad_u64_u32 v[0:1], null, v0, s1, v[2:3]
	s_mul_i32 s3, s3, s8
	s_mul_hi_u32 s4, s2, s8
	v_mov_b32_e32 v1, v4
	s_add_i32 s3, s4, s3
	s_mul_i32 s2, s2, s8
	s_ashr_i32 s5, s0, 31
	s_lshl_b64 s[2:3], s[2:3], 3
	s_mov_b32 s4, s0
	v_lshlrev_b64 v[0:1], 3, v[0:1]
	s_add_u32 s2, s18, s2
	s_addc_u32 s3, s19, s3
	s_lshl_b64 s[0:1], s[4:5], 3
	s_add_u32 s0, s2, s0
	s_addc_u32 s1, s3, s1
	v_add_co_u32 v0, vcc_lo, s0, v0
	v_add_co_ci_u32_e64 v1, null, s1, v1, vcc_lo
	s_waitcnt vmcnt(0)
	global_store_dwordx2 v[0:1], v[5:6], off
.LBB14_14:
	s_endpgm
	.section	.rodata,"a",@progbits
	.p2align	6, 0x0
	.amdhsa_kernel _ZN9rocsolver6v33100L8copy_matIdPdS2_NS0_7no_maskEEEviiT0_iilT1_iilT2_13rocblas_fill_17rocblas_diagonal_
		.amdhsa_group_segment_fixed_size 0
		.amdhsa_private_segment_fixed_size 0
		.amdhsa_kernarg_size 328
		.amdhsa_user_sgpr_count 6
		.amdhsa_user_sgpr_private_segment_buffer 1
		.amdhsa_user_sgpr_dispatch_ptr 0
		.amdhsa_user_sgpr_queue_ptr 0
		.amdhsa_user_sgpr_kernarg_segment_ptr 1
		.amdhsa_user_sgpr_dispatch_id 0
		.amdhsa_user_sgpr_flat_scratch_init 0
		.amdhsa_user_sgpr_private_segment_size 0
		.amdhsa_wavefront_size32 1
		.amdhsa_uses_dynamic_stack 0
		.amdhsa_system_sgpr_private_segment_wavefront_offset 0
		.amdhsa_system_sgpr_workgroup_id_x 1
		.amdhsa_system_sgpr_workgroup_id_y 1
		.amdhsa_system_sgpr_workgroup_id_z 1
		.amdhsa_system_sgpr_workgroup_info 0
		.amdhsa_system_vgpr_workitem_id 1
		.amdhsa_next_free_vgpr 7
		.amdhsa_next_free_sgpr 20
		.amdhsa_reserve_vcc 1
		.amdhsa_reserve_flat_scratch 0
		.amdhsa_float_round_mode_32 0
		.amdhsa_float_round_mode_16_64 0
		.amdhsa_float_denorm_mode_32 3
		.amdhsa_float_denorm_mode_16_64 3
		.amdhsa_dx10_clamp 1
		.amdhsa_ieee_mode 1
		.amdhsa_fp16_overflow 0
		.amdhsa_workgroup_processor_mode 1
		.amdhsa_memory_ordered 1
		.amdhsa_forward_progress 1
		.amdhsa_shared_vgpr_count 0
		.amdhsa_exception_fp_ieee_invalid_op 0
		.amdhsa_exception_fp_denorm_src 0
		.amdhsa_exception_fp_ieee_div_zero 0
		.amdhsa_exception_fp_ieee_overflow 0
		.amdhsa_exception_fp_ieee_underflow 0
		.amdhsa_exception_fp_ieee_inexact 0
		.amdhsa_exception_int_div_zero 0
	.end_amdhsa_kernel
	.section	.text._ZN9rocsolver6v33100L8copy_matIdPdS2_NS0_7no_maskEEEviiT0_iilT1_iilT2_13rocblas_fill_17rocblas_diagonal_,"axG",@progbits,_ZN9rocsolver6v33100L8copy_matIdPdS2_NS0_7no_maskEEEviiT0_iilT1_iilT2_13rocblas_fill_17rocblas_diagonal_,comdat
.Lfunc_end14:
	.size	_ZN9rocsolver6v33100L8copy_matIdPdS2_NS0_7no_maskEEEviiT0_iilT1_iilT2_13rocblas_fill_17rocblas_diagonal_, .Lfunc_end14-_ZN9rocsolver6v33100L8copy_matIdPdS2_NS0_7no_maskEEEviiT0_iilT1_iilT2_13rocblas_fill_17rocblas_diagonal_
                                        ; -- End function
	.set _ZN9rocsolver6v33100L8copy_matIdPdS2_NS0_7no_maskEEEviiT0_iilT1_iilT2_13rocblas_fill_17rocblas_diagonal_.num_vgpr, 7
	.set _ZN9rocsolver6v33100L8copy_matIdPdS2_NS0_7no_maskEEEviiT0_iilT1_iilT2_13rocblas_fill_17rocblas_diagonal_.num_agpr, 0
	.set _ZN9rocsolver6v33100L8copy_matIdPdS2_NS0_7no_maskEEEviiT0_iilT1_iilT2_13rocblas_fill_17rocblas_diagonal_.numbered_sgpr, 20
	.set _ZN9rocsolver6v33100L8copy_matIdPdS2_NS0_7no_maskEEEviiT0_iilT1_iilT2_13rocblas_fill_17rocblas_diagonal_.num_named_barrier, 0
	.set _ZN9rocsolver6v33100L8copy_matIdPdS2_NS0_7no_maskEEEviiT0_iilT1_iilT2_13rocblas_fill_17rocblas_diagonal_.private_seg_size, 0
	.set _ZN9rocsolver6v33100L8copy_matIdPdS2_NS0_7no_maskEEEviiT0_iilT1_iilT2_13rocblas_fill_17rocblas_diagonal_.uses_vcc, 1
	.set _ZN9rocsolver6v33100L8copy_matIdPdS2_NS0_7no_maskEEEviiT0_iilT1_iilT2_13rocblas_fill_17rocblas_diagonal_.uses_flat_scratch, 0
	.set _ZN9rocsolver6v33100L8copy_matIdPdS2_NS0_7no_maskEEEviiT0_iilT1_iilT2_13rocblas_fill_17rocblas_diagonal_.has_dyn_sized_stack, 0
	.set _ZN9rocsolver6v33100L8copy_matIdPdS2_NS0_7no_maskEEEviiT0_iilT1_iilT2_13rocblas_fill_17rocblas_diagonal_.has_recursion, 0
	.set _ZN9rocsolver6v33100L8copy_matIdPdS2_NS0_7no_maskEEEviiT0_iilT1_iilT2_13rocblas_fill_17rocblas_diagonal_.has_indirect_call, 0
	.section	.AMDGPU.csdata,"",@progbits
; Kernel info:
; codeLenInByte = 488
; TotalNumSgprs: 22
; NumVgprs: 7
; ScratchSize: 0
; MemoryBound: 0
; FloatMode: 240
; IeeeMode: 1
; LDSByteSize: 0 bytes/workgroup (compile time only)
; SGPRBlocks: 0
; VGPRBlocks: 0
; NumSGPRsForWavesPerEU: 22
; NumVGPRsForWavesPerEU: 7
; Occupancy: 16
; WaveLimiterHint : 0
; COMPUTE_PGM_RSRC2:SCRATCH_EN: 0
; COMPUTE_PGM_RSRC2:USER_SGPR: 6
; COMPUTE_PGM_RSRC2:TRAP_HANDLER: 0
; COMPUTE_PGM_RSRC2:TGID_X_EN: 1
; COMPUTE_PGM_RSRC2:TGID_Y_EN: 1
; COMPUTE_PGM_RSRC2:TGID_Z_EN: 1
; COMPUTE_PGM_RSRC2:TIDIG_COMP_CNT: 1
	.section	.text._ZN9rocsolver6v33100L18stebz_case1_kernelIdPdEEv15rocblas_erange_T_S4_T0_ilPiS6_PS4_lS6_lS6_li,"axG",@progbits,_ZN9rocsolver6v33100L18stebz_case1_kernelIdPdEEv15rocblas_erange_T_S4_T0_ilPiS6_PS4_lS6_lS6_li,comdat
	.globl	_ZN9rocsolver6v33100L18stebz_case1_kernelIdPdEEv15rocblas_erange_T_S4_T0_ilPiS6_PS4_lS6_lS6_li ; -- Begin function _ZN9rocsolver6v33100L18stebz_case1_kernelIdPdEEv15rocblas_erange_T_S4_T0_ilPiS6_PS4_lS6_lS6_li
	.p2align	8
	.type	_ZN9rocsolver6v33100L18stebz_case1_kernelIdPdEEv15rocblas_erange_T_S4_T0_ilPiS6_PS4_lS6_lS6_li,@function
_ZN9rocsolver6v33100L18stebz_case1_kernelIdPdEEv15rocblas_erange_T_S4_T0_ilPiS6_PS4_lS6_lS6_li: ; @_ZN9rocsolver6v33100L18stebz_case1_kernelIdPdEEv15rocblas_erange_T_S4_T0_ilPiS6_PS4_lS6_lS6_li
; %bb.0:
	s_clause 0x1
	s_load_dword s0, s[4:5], 0x84
	s_load_dword s1, s[4:5], 0x70
	s_waitcnt lgkmcnt(0)
	s_and_b32 s0, s0, 0xffff
	v_mad_u64_u32 v[0:1], null, s6, s0, v[0:1]
	s_mov_b32 s0, exec_lo
	v_cmpx_gt_i32_e64 s1, v0
	s_cbranch_execz .LBB15_7
; %bb.1:
	s_load_dwordx16 s[8:23], s[4:5], 0x28
	v_ashrrev_i32_e32 v1, 31, v0
	s_clause 0x1
	s_load_dwordx2 s[0:1], s[4:5], 0x18
	s_load_dword s2, s[4:5], 0x20
	v_mov_b32_e32 v10, 1
	s_waitcnt lgkmcnt(0)
	v_mul_lo_u32 v4, s9, v0
	v_mul_lo_u32 v5, s8, v1
	v_mad_u64_u32 v[2:3], null, s8, v0, 0
	s_ashr_i32 s3, s2, 31
	v_add3_u32 v3, v3, v5, v4
	v_lshlrev_b64 v[2:3], 3, v[2:3]
	v_add_co_u32 v2, vcc_lo, s0, v2
	v_add_co_ci_u32_e64 v3, null, s1, v3, vcc_lo
	s_lshl_b64 s[0:1], s[2:3], 3
	v_add_co_u32 v2, vcc_lo, v2, s0
	v_add_co_ci_u32_e64 v3, null, s1, v3, vcc_lo
	s_load_dwordx2 s[0:1], s[4:5], 0x68
	global_load_dwordx2 v[4:5], v[2:3], off
	s_waitcnt lgkmcnt(0)
	v_mul_lo_u32 v2, s1, v0
	v_mul_lo_u32 v3, s0, v1
	v_mad_u64_u32 v[6:7], null, s0, v0, 0
	s_load_dword s0, s[4:5], 0x0
	v_add3_u32 v7, v7, v3, v2
	v_lshlrev_b64 v[2:3], 2, v[0:1]
	v_lshlrev_b64 v[6:7], 2, v[6:7]
	v_add_co_u32 v8, vcc_lo, s12, v2
	v_add_co_ci_u32_e64 v9, null, s13, v3, vcc_lo
	v_add_co_u32 v6, vcc_lo, s22, v6
	v_add_co_ci_u32_e64 v7, null, s23, v7, vcc_lo
	s_waitcnt lgkmcnt(0)
	s_cmpk_lg_i32 s0, 0xe8
	global_store_dword v[8:9], v10, off
	s_cselect_b32 s1, -1, 0
	global_store_dword v[6:7], v10, off
	s_and_b32 vcc_lo, exec_lo, s1
	s_cbranch_vccnz .LBB15_3
; %bb.2:
	s_load_dwordx4 s[4:7], s[4:5], 0x8
	s_andn2_b32 s1, s1, exec_lo
	s_waitcnt vmcnt(0) lgkmcnt(0)
	v_cmp_nge_f64_e32 vcc_lo, s[4:5], v[4:5]
	v_cmp_nlt_f64_e64 s0, s[6:7], v[4:5]
	s_and_b32 s0, vcc_lo, s0
	s_and_b32 s2, s0, exec_lo
	s_mov_b32 s0, -1
	s_or_b32 s1, s1, s2
	s_and_saveexec_b32 s2, s1
	s_xor_b32 s1, exec_lo, s2
	s_cbranch_execnz .LBB15_4
	s_branch .LBB15_5
.LBB15_3:
	s_mov_b32 s0, 0
	s_and_saveexec_b32 s2, s1
	s_xor_b32 s1, exec_lo, s2
	s_cbranch_execz .LBB15_5
.LBB15_4:
	v_mul_lo_u32 v8, s17, v0
	v_mul_lo_u32 v9, s16, v1
	v_mad_u64_u32 v[6:7], null, s16, v0, 0
	v_mul_lo_u32 v10, s21, v0
	v_mul_lo_u32 v11, s20, v1
	v_mad_u64_u32 v[0:1], null, s20, v0, 0
	s_andn2_b32 s0, s0, exec_lo
	v_add3_u32 v7, v7, v9, v8
	v_add_co_u32 v8, vcc_lo, s10, v2
	v_add_co_ci_u32_e64 v9, null, s11, v3, vcc_lo
	v_add3_u32 v1, v1, v11, v10
	v_lshlrev_b64 v[6:7], 3, v[6:7]
	v_mov_b32_e32 v10, 1
	v_lshlrev_b64 v[0:1], 2, v[0:1]
	v_add_co_u32 v6, vcc_lo, s14, v6
	v_add_co_ci_u32_e64 v7, null, s15, v7, vcc_lo
	v_add_co_u32 v0, vcc_lo, s18, v0
	v_add_co_ci_u32_e64 v1, null, s19, v1, vcc_lo
	global_store_dword v[8:9], v10, off
	s_waitcnt vmcnt(0)
	global_store_dwordx2 v[6:7], v[4:5], off
	global_store_dword v[0:1], v10, off
.LBB15_5:
	s_or_b32 exec_lo, exec_lo, s1
	s_and_b32 exec_lo, exec_lo, s0
	s_cbranch_execz .LBB15_7
; %bb.6:
	v_add_co_u32 v0, vcc_lo, s10, v2
	v_add_co_ci_u32_e64 v1, null, s11, v3, vcc_lo
	v_mov_b32_e32 v2, 0
	global_store_dword v[0:1], v2, off
.LBB15_7:
	s_endpgm
	.section	.rodata,"a",@progbits
	.p2align	6, 0x0
	.amdhsa_kernel _ZN9rocsolver6v33100L18stebz_case1_kernelIdPdEEv15rocblas_erange_T_S4_T0_ilPiS6_PS4_lS6_lS6_li
		.amdhsa_group_segment_fixed_size 0
		.amdhsa_private_segment_fixed_size 0
		.amdhsa_kernarg_size 376
		.amdhsa_user_sgpr_count 6
		.amdhsa_user_sgpr_private_segment_buffer 1
		.amdhsa_user_sgpr_dispatch_ptr 0
		.amdhsa_user_sgpr_queue_ptr 0
		.amdhsa_user_sgpr_kernarg_segment_ptr 1
		.amdhsa_user_sgpr_dispatch_id 0
		.amdhsa_user_sgpr_flat_scratch_init 0
		.amdhsa_user_sgpr_private_segment_size 0
		.amdhsa_wavefront_size32 1
		.amdhsa_uses_dynamic_stack 0
		.amdhsa_system_sgpr_private_segment_wavefront_offset 0
		.amdhsa_system_sgpr_workgroup_id_x 1
		.amdhsa_system_sgpr_workgroup_id_y 0
		.amdhsa_system_sgpr_workgroup_id_z 0
		.amdhsa_system_sgpr_workgroup_info 0
		.amdhsa_system_vgpr_workitem_id 0
		.amdhsa_next_free_vgpr 12
		.amdhsa_next_free_sgpr 24
		.amdhsa_reserve_vcc 1
		.amdhsa_reserve_flat_scratch 0
		.amdhsa_float_round_mode_32 0
		.amdhsa_float_round_mode_16_64 0
		.amdhsa_float_denorm_mode_32 3
		.amdhsa_float_denorm_mode_16_64 3
		.amdhsa_dx10_clamp 1
		.amdhsa_ieee_mode 1
		.amdhsa_fp16_overflow 0
		.amdhsa_workgroup_processor_mode 1
		.amdhsa_memory_ordered 1
		.amdhsa_forward_progress 1
		.amdhsa_shared_vgpr_count 0
		.amdhsa_exception_fp_ieee_invalid_op 0
		.amdhsa_exception_fp_denorm_src 0
		.amdhsa_exception_fp_ieee_div_zero 0
		.amdhsa_exception_fp_ieee_overflow 0
		.amdhsa_exception_fp_ieee_underflow 0
		.amdhsa_exception_fp_ieee_inexact 0
		.amdhsa_exception_int_div_zero 0
	.end_amdhsa_kernel
	.section	.text._ZN9rocsolver6v33100L18stebz_case1_kernelIdPdEEv15rocblas_erange_T_S4_T0_ilPiS6_PS4_lS6_lS6_li,"axG",@progbits,_ZN9rocsolver6v33100L18stebz_case1_kernelIdPdEEv15rocblas_erange_T_S4_T0_ilPiS6_PS4_lS6_lS6_li,comdat
.Lfunc_end15:
	.size	_ZN9rocsolver6v33100L18stebz_case1_kernelIdPdEEv15rocblas_erange_T_S4_T0_ilPiS6_PS4_lS6_lS6_li, .Lfunc_end15-_ZN9rocsolver6v33100L18stebz_case1_kernelIdPdEEv15rocblas_erange_T_S4_T0_ilPiS6_PS4_lS6_lS6_li
                                        ; -- End function
	.set _ZN9rocsolver6v33100L18stebz_case1_kernelIdPdEEv15rocblas_erange_T_S4_T0_ilPiS6_PS4_lS6_lS6_li.num_vgpr, 12
	.set _ZN9rocsolver6v33100L18stebz_case1_kernelIdPdEEv15rocblas_erange_T_S4_T0_ilPiS6_PS4_lS6_lS6_li.num_agpr, 0
	.set _ZN9rocsolver6v33100L18stebz_case1_kernelIdPdEEv15rocblas_erange_T_S4_T0_ilPiS6_PS4_lS6_lS6_li.numbered_sgpr, 24
	.set _ZN9rocsolver6v33100L18stebz_case1_kernelIdPdEEv15rocblas_erange_T_S4_T0_ilPiS6_PS4_lS6_lS6_li.num_named_barrier, 0
	.set _ZN9rocsolver6v33100L18stebz_case1_kernelIdPdEEv15rocblas_erange_T_S4_T0_ilPiS6_PS4_lS6_lS6_li.private_seg_size, 0
	.set _ZN9rocsolver6v33100L18stebz_case1_kernelIdPdEEv15rocblas_erange_T_S4_T0_ilPiS6_PS4_lS6_lS6_li.uses_vcc, 1
	.set _ZN9rocsolver6v33100L18stebz_case1_kernelIdPdEEv15rocblas_erange_T_S4_T0_ilPiS6_PS4_lS6_lS6_li.uses_flat_scratch, 0
	.set _ZN9rocsolver6v33100L18stebz_case1_kernelIdPdEEv15rocblas_erange_T_S4_T0_ilPiS6_PS4_lS6_lS6_li.has_dyn_sized_stack, 0
	.set _ZN9rocsolver6v33100L18stebz_case1_kernelIdPdEEv15rocblas_erange_T_S4_T0_ilPiS6_PS4_lS6_lS6_li.has_recursion, 0
	.set _ZN9rocsolver6v33100L18stebz_case1_kernelIdPdEEv15rocblas_erange_T_S4_T0_ilPiS6_PS4_lS6_lS6_li.has_indirect_call, 0
	.section	.AMDGPU.csdata,"",@progbits
; Kernel info:
; codeLenInByte = 604
; TotalNumSgprs: 26
; NumVgprs: 12
; ScratchSize: 0
; MemoryBound: 0
; FloatMode: 240
; IeeeMode: 1
; LDSByteSize: 0 bytes/workgroup (compile time only)
; SGPRBlocks: 0
; VGPRBlocks: 1
; NumSGPRsForWavesPerEU: 26
; NumVGPRsForWavesPerEU: 12
; Occupancy: 16
; WaveLimiterHint : 0
; COMPUTE_PGM_RSRC2:SCRATCH_EN: 0
; COMPUTE_PGM_RSRC2:USER_SGPR: 6
; COMPUTE_PGM_RSRC2:TRAP_HANDLER: 0
; COMPUTE_PGM_RSRC2:TGID_X_EN: 1
; COMPUTE_PGM_RSRC2:TGID_Y_EN: 0
; COMPUTE_PGM_RSRC2:TGID_Z_EN: 0
; COMPUTE_PGM_RSRC2:TIDIG_COMP_CNT: 0
	.section	.text._ZN9rocsolver6v33100L22stebz_splitting_kernelIdPdEEv15rocblas_erange_iT_S4_iiT0_iiS5_iiPiPS4_lS6_lS6_S7_S7_S7_S7_S6_S4_S4_,"axG",@progbits,_ZN9rocsolver6v33100L22stebz_splitting_kernelIdPdEEv15rocblas_erange_iT_S4_iiT0_iiS5_iiPiPS4_lS6_lS6_S7_S7_S7_S7_S6_S4_S4_,comdat
	.globl	_ZN9rocsolver6v33100L22stebz_splitting_kernelIdPdEEv15rocblas_erange_iT_S4_iiT0_iiS5_iiPiPS4_lS6_lS6_S7_S7_S7_S7_S6_S4_S4_ ; -- Begin function _ZN9rocsolver6v33100L22stebz_splitting_kernelIdPdEEv15rocblas_erange_iT_S4_iiT0_iiS5_iiPiPS4_lS6_lS6_S7_S7_S7_S7_S6_S4_S4_
	.p2align	8
	.type	_ZN9rocsolver6v33100L22stebz_splitting_kernelIdPdEEv15rocblas_erange_iT_S4_iiT0_iiS5_iiPiPS4_lS6_lS6_S7_S7_S7_S7_S6_S4_S4_,@function
_ZN9rocsolver6v33100L22stebz_splitting_kernelIdPdEEv15rocblas_erange_iT_S4_iiT0_iiS5_iiPiPS4_lS6_lS6_S7_S7_S7_S7_S6_S4_S4_: ; @_ZN9rocsolver6v33100L22stebz_splitting_kernelIdPdEEv15rocblas_erange_iT_S4_iiT0_iiS5_iiPiPS4_lS6_lS6_S7_S7_S7_S7_S6_S4_S4_
; %bb.0:
	s_mov_b32 s34, s7
	s_load_dwordx2 s[6:7], s[4:5], 0x0
	v_lshlrev_b32_e32 v1, 2, v0
	v_mov_b32_e32 v3, 0
	v_add_nc_u32_e32 v20, -1, v0
	s_waitcnt lgkmcnt(0)
	s_add_i32 s33, s7, -1
	s_ashr_i32 s0, s33, 31
	s_lshr_b32 s0, s0, 24
	s_add_i32 s0, s33, s0
	s_and_b32 s1, s0, 0xffffff00
	s_ashr_i32 s0, s0, 8
	s_sub_i32 s1, s33, s1
	v_cmp_gt_i32_e32 vcc_lo, s1, v0
	v_add_co_ci_u32_e64 v21, null, s0, 0, vcc_lo
	v_cmp_eq_u32_e64 s0, 0, v0
	v_cmp_ne_u32_e32 vcc_lo, 0, v0
	ds_write_b32 v1, v21 offset:2048
	s_waitcnt lgkmcnt(0)
	s_barrier
	buffer_gl0_inv
	s_and_saveexec_b32 s2, vcc_lo
	s_cbranch_execz .LBB16_10
; %bb.1:
	v_mov_b32_e32 v3, 0
	v_mov_b32_e32 v2, 0
	s_mov_b32 s3, exec_lo
	v_cmpx_lt_u32_e32 6, v20
	s_cbranch_execz .LBB16_5
; %bb.2:
	v_and_b32_e32 v2, 0xf8, v0
	v_mov_b32_e32 v3, 0
	s_movk_i32 s9, 0x800
	s_mov_b32 s8, 0
	s_mov_b32 s10, 0
	.p2align	6
.LBB16_3:                               ; =>This Inner Loop Header: Depth=1
	v_mov_b32_e32 v8, s9
	s_add_i32 s10, s10, 8
	s_add_i32 s9, s9, 32
	v_cmp_eq_u32_e64 s1, s10, v2
	ds_read_b128 v[4:7], v8
	ds_read_b128 v[8:11], v8 offset:16
	s_or_b32 s8, s1, s8
	s_waitcnt lgkmcnt(1)
	v_add_nc_u32_e32 v3, v4, v3
	v_add_nc_u32_e32 v3, v5, v3
	;; [unrolled: 1-line block ×4, first 2 shown]
	s_waitcnt lgkmcnt(0)
	v_add_nc_u32_e32 v3, v8, v3
	v_add_nc_u32_e32 v3, v9, v3
	;; [unrolled: 1-line block ×4, first 2 shown]
	s_andn2_b32 exec_lo, exec_lo, s8
	s_cbranch_execnz .LBB16_3
; %bb.4:
	s_or_b32 exec_lo, exec_lo, s8
.LBB16_5:
	s_or_b32 exec_lo, exec_lo, s3
	v_and_b32_e32 v4, 7, v0
	s_mov_b32 s8, 0
	s_mov_b32 s3, exec_lo
	v_cmpx_ne_u32_e32 0, v4
	s_cbranch_execz .LBB16_9
; %bb.6:
	v_lshl_or_b32 v2, v2, 2, 0x800
.LBB16_7:                               ; =>This Inner Loop Header: Depth=1
	ds_read_b32 v5, v2
	v_add_nc_u32_e32 v4, -1, v4
	v_add_nc_u32_e32 v2, 4, v2
	v_cmp_eq_u32_e64 s1, 0, v4
	s_or_b32 s8, s1, s8
	s_waitcnt lgkmcnt(0)
	v_add_nc_u32_e32 v3, v5, v3
	s_andn2_b32 exec_lo, exec_lo, s8
	s_cbranch_execnz .LBB16_7
; %bb.8:
	s_or_b32 exec_lo, exec_lo, s8
.LBB16_9:
	s_or_b32 exec_lo, exec_lo, s3
.LBB16_10:
	s_or_b32 exec_lo, exec_lo, s2
	s_clause 0x3
	s_load_dwordx4 s[36:39], s[4:5], 0x20
	s_load_dwordx16 s[8:23], s[4:5], 0x40
	s_load_dwordx2 s[40:41], s[4:5], 0xa0
	s_load_dwordx8 s[24:31], s[4:5], 0x80
	v_ashrrev_i32_e32 v4, 31, v3
	s_mul_i32 s2, s7, s34
	v_or_b32_e32 v19, 0x800, v1
	s_ashr_i32 s3, s2, 31
	s_mul_i32 s42, s33, s34
	v_lshlrev_b64 v[1:2], 2, v[3:4]
	s_ashr_i32 s35, s34, 31
	s_lshl_b64 s[2:3], s[2:3], 2
	s_ashr_i32 s43, s42, 31
	v_mov_b32_e32 v5, 0
	s_waitcnt lgkmcnt(0)
	s_ashr_i32 s45, s38, 31
	s_mov_b32 s44, s38
	s_mul_hi_u32 s1, s12, s34
	s_mul_i32 s38, s12, s35
	s_add_u32 s2, s18, s2
	s_addc_u32 s3, s19, s3
	s_add_i32 s18, s1, s38
	v_add_co_u32 v1, s1, s2, v1
	v_add_co_ci_u32_e64 v2, null, s3, v2, s1
	s_mul_i32 s13, s13, s34
	s_mul_hi_i32 s47, s39, s34
	s_mul_i32 s46, s39, s34
	s_add_i32 s13, s18, s13
	s_mul_i32 s12, s12, s34
	s_mov_b32 s3, exec_lo
	v_cmpx_lt_i32_e32 0, v21
	s_cbranch_execz .LBB16_16
; %bb.11:
	s_load_dwordx4 s[48:51], s[4:5], 0x30
	v_lshlrev_b64 v[4:5], 3, v[3:4]
	s_waitcnt lgkmcnt(0)
	s_ashr_i32 s19, s50, 31
	s_mul_hi_i32 s39, s34, s51
	s_mul_i32 s38, s34, s51
	s_mov_b32 s18, s50
	s_lshl_b64 s[38:39], s[38:39], 3
	s_lshl_b64 s[18:19], s[18:19], 3
	s_add_u32 s1, s38, s18
	s_addc_u32 s2, s39, s19
	s_add_u32 s1, s48, s1
	s_addc_u32 s2, s49, s2
	s_lshl_b64 s[18:19], s[46:47], 3
	s_lshl_b64 s[38:39], s[44:45], 3
	v_add_co_u32 v7, s1, s1, v4
	v_add_co_ci_u32_e64 v8, null, s2, v5, s1
	s_add_u32 s1, s18, s38
	s_addc_u32 s2, s19, s39
	s_add_u32 s1, s36, s1
	s_addc_u32 s2, s37, s2
	s_lshl_b64 s[18:19], s[42:43], 3
	v_add_co_u32 v9, s1, s1, v4
	v_add_co_ci_u32_e64 v10, null, s2, v5, s1
	s_add_u32 s1, s22, s18
	s_addc_u32 s2, s23, s19
	s_lshl_b64 s[18:19], s[12:13], 3
	v_add_co_u32 v11, s1, s1, v4
	v_add_co_ci_u32_e64 v12, null, s2, v5, s1
	s_add_u32 s1, s10, s18
	s_addc_u32 s2, s11, s19
	v_add_co_u32 v13, s1, s1, v4
	v_add_co_ci_u32_e64 v14, null, s2, v5, s1
	v_mov_b32_e32 v5, 0
	s_mov_b32 s18, 0
	s_branch .LBB16_13
.LBB16_12:                              ;   in Loop: Header=BB16_13 Depth=1
	s_or_b32 exec_lo, exec_lo, s2
	v_add_co_u32 v7, s1, v7, 8
	v_add_nc_u32_e32 v21, -1, v21
	v_add_co_ci_u32_e64 v8, null, 0, v8, s1
	v_add_co_u32 v9, s1, v9, 8
	global_store_dwordx2 v[11:12], v[17:18], off
	global_store_dwordx2 v[13:14], v[15:16], off
	v_add_co_ci_u32_e64 v10, null, 0, v10, s1
	v_add_co_u32 v11, s1, v11, 8
	v_add_co_ci_u32_e64 v12, null, 0, v12, s1
	v_cmp_eq_u32_e64 s1, 0, v21
	v_add_co_u32 v13, s2, v13, 8
	v_add_nc_u32_e32 v3, 1, v3
	v_add_co_ci_u32_e64 v14, null, 0, v14, s2
	s_or_b32 s18, s1, s18
	s_andn2_b32 exec_lo, exec_lo, s18
	s_cbranch_execz .LBB16_15
.LBB16_13:                              ; =>This Inner Loop Header: Depth=1
	global_load_dwordx4 v[22:25], v[9:10], off
	global_load_dwordx2 v[15:16], v[7:8], off
	s_mov_b32 s2, exec_lo
	s_waitcnt vmcnt(1)
	v_mul_f64 v[17:18], v[22:23], v[24:25]
	v_mul_f64 v[22:23], s[30:31], |v[17:18]|
	s_waitcnt vmcnt(0)
	v_mul_f64 v[17:18], v[15:16], v[15:16]
	v_fma_f64 v[22:23], s[30:31], v[22:23], s[40:41]
	v_cmpx_gt_f64_e32 v[22:23], v[17:18]
	s_cbranch_execz .LBB16_12
; %bb.14:                               ;   in Loop: Header=BB16_13 Depth=1
	v_ashrrev_i32_e32 v6, 31, v5
	v_mov_b32_e32 v17, 0
	v_mov_b32_e32 v18, 0
	v_lshlrev_b64 v[15:16], 2, v[5:6]
	v_add_nc_u32_e32 v5, 1, v5
	v_add_co_u32 v22, s1, v1, v15
	v_add_co_ci_u32_e64 v23, null, v2, v16, s1
	v_mov_b32_e32 v15, 0
	v_mov_b32_e32 v16, 0
	global_store_dword v[22:23], v3, off
	s_branch .LBB16_12
.LBB16_15:
	s_or_b32 exec_lo, exec_lo, s18
.LBB16_16:
	s_or_b32 exec_lo, exec_lo, s3
	v_mov_b32_e32 v3, 0
	ds_write_b32 v19, v5
	s_waitcnt lgkmcnt(0)
	s_waitcnt_vscnt null, 0x0
	s_barrier
	buffer_gl0_inv
	s_and_saveexec_b32 s1, vcc_lo
	s_cbranch_execz .LBB16_26
; %bb.17:
	v_mov_b32_e32 v3, 0
	v_mov_b32_e32 v4, 0
	s_mov_b32 s2, exec_lo
	v_cmpx_lt_u32_e32 6, v20
	s_cbranch_execz .LBB16_21
; %bb.18:
	v_and_b32_e32 v4, 0xf8, v0
	v_mov_b32_e32 v3, 0
	s_movk_i32 s18, 0x800
	s_mov_b32 s3, 0
	s_mov_b32 s19, 0
	.p2align	6
.LBB16_19:                              ; =>This Inner Loop Header: Depth=1
	v_mov_b32_e32 v10, s18
	s_add_i32 s19, s19, 8
	s_add_i32 s18, s18, 32
	v_cmp_eq_u32_e32 vcc_lo, s19, v4
	ds_read_b128 v[6:9], v10
	ds_read_b128 v[10:13], v10 offset:16
	s_or_b32 s3, vcc_lo, s3
	s_waitcnt lgkmcnt(1)
	v_add_nc_u32_e32 v3, v6, v3
	v_add_nc_u32_e32 v3, v7, v3
	;; [unrolled: 1-line block ×4, first 2 shown]
	s_waitcnt lgkmcnt(0)
	v_add_nc_u32_e32 v3, v10, v3
	v_add_nc_u32_e32 v3, v11, v3
	;; [unrolled: 1-line block ×4, first 2 shown]
	s_andn2_b32 exec_lo, exec_lo, s3
	s_cbranch_execnz .LBB16_19
; %bb.20:
	s_or_b32 exec_lo, exec_lo, s3
.LBB16_21:
	s_or_b32 exec_lo, exec_lo, s2
	v_and_b32_e32 v6, 7, v0
	s_mov_b32 s3, 0
	s_mov_b32 s2, exec_lo
	v_cmpx_ne_u32_e32 0, v6
	s_cbranch_execz .LBB16_25
; %bb.22:
	v_lshl_or_b32 v4, v4, 2, 0x800
.LBB16_23:                              ; =>This Inner Loop Header: Depth=1
	ds_read_b32 v7, v4
	v_add_nc_u32_e32 v6, -1, v6
	v_add_nc_u32_e32 v4, 4, v4
	v_cmp_eq_u32_e32 vcc_lo, 0, v6
	s_or_b32 s3, vcc_lo, s3
	s_waitcnt lgkmcnt(0)
	v_add_nc_u32_e32 v3, v7, v3
	s_andn2_b32 exec_lo, exec_lo, s3
	s_cbranch_execnz .LBB16_23
; %bb.24:
	s_or_b32 exec_lo, exec_lo, s3
.LBB16_25:
	s_or_b32 exec_lo, exec_lo, s2
.LBB16_26:
	s_or_b32 exec_lo, exec_lo, s1
	s_mul_i32 s1, s16, s35
	s_mul_hi_u32 s2, s16, s34
	s_add_i32 s1, s2, s1
	s_mul_i32 s2, s17, s34
	s_mov_b32 s17, 0
	s_add_i32 s3, s1, s2
	s_mul_i32 s2, s16, s34
	s_mov_b32 s16, exec_lo
	v_cmpx_lt_i32_e32 0, v5
	s_cbranch_execz .LBB16_29
; %bb.27:
	v_ashrrev_i32_e32 v4, 31, v3
	s_lshl_b64 s[18:19], s[2:3], 2
	s_add_u32 s1, s14, s18
	s_addc_u32 s18, s15, s19
	v_lshlrev_b64 v[6:7], 2, v[3:4]
	v_mov_b32_e32 v4, v5
	v_add_co_u32 v6, vcc_lo, s1, v6
	v_add_co_ci_u32_e64 v7, null, s18, v7, vcc_lo
	.p2align	6
.LBB16_28:                              ; =>This Inner Loop Header: Depth=1
	global_load_dword v8, v[1:2], off
	v_add_nc_u32_e32 v4, -1, v4
	v_add_co_u32 v1, vcc_lo, v1, 4
	v_add_co_ci_u32_e64 v2, null, 0, v2, vcc_lo
	v_cmp_eq_u32_e32 vcc_lo, 0, v4
	s_or_b32 s17, vcc_lo, s17
	s_waitcnt vmcnt(0)
	v_add_nc_u32_e32 v8, 1, v8
	global_store_dword v[6:7], v8, off
	v_add_co_u32 v6, s1, v6, 4
	v_add_co_ci_u32_e64 v7, null, 0, v7, s1
	s_andn2_b32 exec_lo, exec_lo, s17
	s_cbranch_execnz .LBB16_28
.LBB16_29:
	s_or_b32 exec_lo, exec_lo, s16
	v_cmp_eq_u32_e64 s1, 0xff, v0
	s_and_saveexec_b32 s16, s1
	s_cbranch_execz .LBB16_31
; %bb.30:
	v_add_nc_u32_e32 v1, v3, v5
	s_lshl_b64 s[18:19], s[34:35], 2
	v_mov_b32_e32 v5, s7
	s_add_u32 s8, s8, s18
	s_addc_u32 s9, s9, s19
	v_ashrrev_i32_e32 v2, 31, v1
	s_lshl_b64 s[2:3], s[2:3], 2
	v_mov_b32_e32 v4, 0
	s_add_u32 s2, s14, s2
	s_addc_u32 s3, s15, s3
	v_lshlrev_b64 v[2:3], 2, v[1:2]
	v_add_nc_u32_e32 v1, 1, v1
	v_add_co_u32 v2, vcc_lo, s2, v2
	v_add_co_ci_u32_e64 v3, null, s3, v3, vcc_lo
	global_store_dword v[2:3], v5, off
	global_store_dword v4, v1, s[8:9]
.LBB16_31:
	s_or_b32 exec_lo, exec_lo, s16
	v_mov_b32_e32 v1, 0
	v_mov_b32_e32 v2, 0
	v_bfrev_b32_e32 v6, -2
	v_lshlrev_b32_e32 v5, 3, v0
	s_mov_b32 s3, exec_lo
	s_waitcnt_vscnt null, 0x0
	s_barrier
	buffer_gl0_inv
	v_cmpx_gt_i32_e64 s33, v0
	s_cbranch_execz .LBB16_35
; %bb.32:
	s_lshl_b64 s[8:9], s[42:43], 3
	v_mov_b32_e32 v1, 0
	s_add_u32 s2, s22, s8
	s_addc_u32 s8, s23, s9
	v_add_co_u32 v3, s2, s2, v5
	v_add_co_ci_u32_e64 v4, null, s8, 0, s2
	v_mov_b32_e32 v2, 0
	v_bfrev_b32_e32 v6, -2
	v_mov_b32_e32 v7, v0
	s_mov_b32 s8, 0
	.p2align	6
.LBB16_33:                              ; =>This Inner Loop Header: Depth=1
	global_load_dwordx2 v[8:9], v[3:4], off
	v_cmp_eq_u32_e32 vcc_lo, 0x7fffffff, v6
	v_add_nc_u32_e32 v10, 1, v7
	v_add_nc_u32_e32 v7, 0x100, v7
	v_add_co_u32 v3, s2, 0x800, v3
	v_add_co_ci_u32_e64 v4, null, 0, v4, s2
	v_cmp_le_i32_e64 s2, s33, v7
	s_waitcnt vmcnt(0)
	v_cmp_lt_f64_e64 s9, v[1:2], |v[8:9]|
	v_and_b32_e32 v9, 0x7fffffff, v9
	s_or_b32 vcc_lo, s9, vcc_lo
	s_or_b32 s8, s2, s8
	v_cndmask_b32_e32 v2, v2, v9, vcc_lo
	v_cndmask_b32_e32 v1, v1, v8, vcc_lo
	;; [unrolled: 1-line block ×3, first 2 shown]
	s_andn2_b32 exec_lo, exec_lo, s8
	s_cbranch_execnz .LBB16_33
; %bb.34:
	s_or_b32 exec_lo, exec_lo, s8
.LBB16_35:
	s_or_b32 exec_lo, exec_lo, s3
	s_cmp_lt_i32 s7, 3
	ds_write_b64 v5, v[1:2]
	ds_write_b32 v19, v6
	s_waitcnt lgkmcnt(0)
	s_barrier
	buffer_gl0_inv
	s_cbranch_scc1 .LBB16_72
; %bb.36:
	s_mov_b32 s3, exec_lo
	v_cmpx_gt_u32_e32 0x80, v0
	s_cbranch_execz .LBB16_42
; %bb.37:
	ds_read_b64 v[3:4], v5 offset:1024
	ds_read_b32 v7, v19 offset:512
	s_mov_b32 s9, exec_lo
	s_waitcnt lgkmcnt(1)
	v_cmp_lt_f64_e64 s8, v[1:2], v[3:4]
	v_cmpx_nlt_f64_e32 v[1:2], v[3:4]
	s_cbranch_execz .LBB16_39
; %bb.38:
	v_cmp_eq_f64_e32 vcc_lo, v[1:2], v[3:4]
	s_waitcnt lgkmcnt(0)
	v_cmp_gt_i32_e64 s2, v6, v7
	s_andn2_b32 s8, s8, exec_lo
	s_and_b32 s2, vcc_lo, s2
	s_and_b32 s2, s2, exec_lo
	s_or_b32 s8, s8, s2
.LBB16_39:
	s_or_b32 exec_lo, exec_lo, s9
	s_and_saveexec_b32 s2, s8
	s_cbranch_execz .LBB16_41
; %bb.40:
	v_mov_b32_e32 v1, v3
	s_waitcnt lgkmcnt(0)
	v_mov_b32_e32 v6, v7
	v_mov_b32_e32 v2, v4
	ds_write_b64 v5, v[3:4]
	ds_write_b32 v19, v7
.LBB16_41:
	s_or_b32 exec_lo, exec_lo, s2
.LBB16_42:
	s_or_b32 exec_lo, exec_lo, s3
	s_mov_b32 s3, exec_lo
	s_waitcnt lgkmcnt(0)
	s_barrier
	buffer_gl0_inv
	v_cmpx_gt_u32_e32 64, v0
	s_cbranch_execz .LBB16_48
; %bb.43:
	ds_read_b64 v[3:4], v5 offset:512
	ds_read_b32 v7, v19 offset:256
	s_mov_b32 s9, exec_lo
	s_waitcnt lgkmcnt(1)
	v_cmp_lt_f64_e64 s8, v[1:2], v[3:4]
	v_cmpx_nlt_f64_e32 v[1:2], v[3:4]
	s_cbranch_execz .LBB16_45
; %bb.44:
	v_cmp_eq_f64_e32 vcc_lo, v[1:2], v[3:4]
	s_waitcnt lgkmcnt(0)
	v_cmp_gt_i32_e64 s2, v6, v7
	s_andn2_b32 s8, s8, exec_lo
	s_and_b32 s2, vcc_lo, s2
	s_and_b32 s2, s2, exec_lo
	s_or_b32 s8, s8, s2
.LBB16_45:
	s_or_b32 exec_lo, exec_lo, s9
	s_and_saveexec_b32 s2, s8
	s_cbranch_execz .LBB16_47
; %bb.46:
	v_mov_b32_e32 v1, v3
	s_waitcnt lgkmcnt(0)
	v_mov_b32_e32 v6, v7
	v_mov_b32_e32 v2, v4
	ds_write_b64 v5, v[3:4]
	ds_write_b32 v19, v7
.LBB16_47:
	s_or_b32 exec_lo, exec_lo, s2
.LBB16_48:
	s_or_b32 exec_lo, exec_lo, s3
	s_mov_b32 s8, exec_lo
	s_waitcnt lgkmcnt(0)
	s_barrier
	buffer_gl0_inv
	v_cmpx_gt_u32_e32 32, v0
	s_cbranch_execz .LBB16_71
; %bb.49:
	ds_read_b64 v[3:4], v5 offset:256
	ds_read_b32 v7, v19 offset:128
	s_mov_b32 s9, exec_lo
	s_waitcnt lgkmcnt(1)
	v_cmp_lt_f64_e64 s3, v[1:2], v[3:4]
	v_cmpx_nlt_f64_e32 v[1:2], v[3:4]
	s_cbranch_execz .LBB16_51
; %bb.50:
	v_cmp_eq_f64_e32 vcc_lo, v[1:2], v[3:4]
	s_waitcnt lgkmcnt(0)
	v_cmp_gt_i32_e64 s2, v6, v7
	s_andn2_b32 s3, s3, exec_lo
	s_and_b32 s2, vcc_lo, s2
	s_and_b32 s2, s2, exec_lo
	s_or_b32 s3, s3, s2
.LBB16_51:
	s_or_b32 exec_lo, exec_lo, s9
	s_and_saveexec_b32 s2, s3
	s_cbranch_execz .LBB16_53
; %bb.52:
	v_mov_b32_e32 v1, v3
	v_mov_b32_e32 v2, v4
	s_waitcnt lgkmcnt(0)
	v_mov_b32_e32 v6, v7
	ds_write_b64 v5, v[3:4]
	ds_write_b32 v19, v7
.LBB16_53:
	s_or_b32 exec_lo, exec_lo, s2
	ds_read_b64 v[3:4], v5 offset:128
	s_waitcnt lgkmcnt(1)
	ds_read_b32 v7, v19 offset:64
	s_mov_b32 s9, exec_lo
	s_waitcnt lgkmcnt(1)
	v_cmp_lt_f64_e64 s3, v[1:2], v[3:4]
	v_cmpx_nlt_f64_e32 v[1:2], v[3:4]
	s_cbranch_execz .LBB16_55
; %bb.54:
	v_cmp_eq_f64_e32 vcc_lo, v[1:2], v[3:4]
	s_waitcnt lgkmcnt(0)
	v_cmp_gt_i32_e64 s2, v6, v7
	s_andn2_b32 s3, s3, exec_lo
	s_and_b32 s2, vcc_lo, s2
	s_and_b32 s2, s2, exec_lo
	s_or_b32 s3, s3, s2
.LBB16_55:
	s_or_b32 exec_lo, exec_lo, s9
	s_and_saveexec_b32 s2, s3
	s_cbranch_execz .LBB16_57
; %bb.56:
	v_mov_b32_e32 v1, v3
	v_mov_b32_e32 v2, v4
	s_waitcnt lgkmcnt(0)
	v_mov_b32_e32 v6, v7
	ds_write_b64 v5, v[3:4]
	ds_write_b32 v19, v7
.LBB16_57:
	s_or_b32 exec_lo, exec_lo, s2
	ds_read_b64 v[3:4], v5 offset:64
	s_waitcnt lgkmcnt(1)
	;; [unrolled: 29-line block ×5, first 2 shown]
	ds_read_b32 v7, v19 offset:4
	s_waitcnt lgkmcnt(1)
	v_cmp_eq_f64_e32 vcc_lo, v[1:2], v[3:4]
	v_cmp_lt_f64_e64 s2, v[1:2], v[3:4]
	s_waitcnt lgkmcnt(0)
	v_cmp_gt_i32_e64 s3, v6, v7
	s_and_b32 s3, vcc_lo, s3
	s_or_b32 s2, s2, s3
	s_and_b32 exec_lo, exec_lo, s2
	s_cbranch_execz .LBB16_71
; %bb.70:
	ds_write_b64 v5, v[3:4]
	ds_write_b32 v19, v7
.LBB16_71:
	s_or_b32 exec_lo, exec_lo, s8
.LBB16_72:
	v_mov_b32_e32 v1, 0
	s_waitcnt lgkmcnt(0)
	s_barrier
	buffer_gl0_inv
	s_load_dwordx4 s[16:19], s[4:5], 0x8
	ds_read_b64 v[1:2], v1
	s_mov_b32 s38, -1
	s_waitcnt lgkmcnt(0)
	v_mov_b32_e32 v3, s18
	v_mul_f64 v[1:2], s[40:41], v[1:2]
	v_mov_b32_e32 v4, s19
	v_cmp_gt_f64_e32 vcc_lo, s[40:41], v[1:2]
	v_readfirstlane_b32 s2, v2
	v_readfirstlane_b32 s3, v1
	v_mov_b32_e32 v1, s16
	v_mov_b32_e32 v2, s17
	s_and_b32 s8, vcc_lo, exec_lo
	s_cselect_b32 s9, s41, s2
	s_cselect_b32 s8, s40, s3
	s_cmpk_lg_i32 s6, 0xe9
	s_cbranch_scc1 .LBB16_121
; %bb.73:
	s_lshl_b64 s[38:39], s[46:47], 3
	s_add_u32 s2, s36, s38
	s_addc_u32 s3, s37, s39
	s_lshl_b64 s[40:41], s[44:45], 3
	s_add_u32 s44, s2, s40
	s_addc_u32 s45, s3, s41
	;; [unrolled: 3-line block ×4, first 2 shown]
	s_lshl_b32 s12, s7, 1
	s_mul_i32 s2, s12, s34
	s_ashr_i32 s3, s2, 31
	s_lshl_b64 s[18:19], s[2:3], 3
	s_add_u32 s10, s26, s18
	s_addc_u32 s11, s27, s19
	s_lshl_b64 s[14:15], s[2:3], 2
	s_add_u32 s16, s28, s14
	s_addc_u32 s17, s29, s15
	s_and_saveexec_b32 s13, s0
	s_cbranch_execz .LBB16_81
; %bb.74:
	v_mov_b32_e32 v10, 0
	s_cmp_gt_i32 s7, 1
	s_clause 0x1
	global_load_dwordx2 v[6:7], v10, s[44:45]
	global_load_dwordx2 v[3:4], v10, s[42:43]
	s_cselect_b32 s48, -1, 0
	s_cmp_lt_i32 s7, 2
	s_waitcnt vmcnt(0)
	v_add_f64 v[1:2], v[6:7], -|v[3:4]|
	v_and_b32_e32 v4, 0x7fffffff, v4
	v_add_f64 v[8:9], v[6:7], -v[1:2]
	v_cmp_ge_f64_e32 vcc_lo, s[8:9], v[8:9]
	v_cndmask_b32_e64 v5, 0, 1, vcc_lo
	s_cbranch_scc1 .LBB16_77
; %bb.75:
	v_cmp_gt_f64_e64 s46, v[8:9], -s[8:9]
	s_xor_b32 s49, s9, 0x80000000
	s_mov_b64 s[2:3], s[22:23]
	s_and_b32 s46, vcc_lo, s46
	s_add_u32 s47, s38, s40
	v_cndmask_b32_e64 v9, v9, s49, s46
	v_cndmask_b32_e64 v8, v8, s8, s46
	s_addc_u32 s46, s39, s41
	s_add_u32 s47, s36, s47
	s_addc_u32 s50, s37, s46
	s_add_u32 s46, s47, 8
	s_addc_u32 s47, s50, 0
	s_mov_b32 s50, s33
	s_inst_prefetch 0x1
	.p2align	6
.LBB16_76:                              ; =>This Inner Loop Header: Depth=1
	s_clause 0x1
	global_load_dwordx2 v[11:12], v10, s[2:3]
	global_load_dwordx2 v[13:14], v10, s[46:47]
	s_add_i32 s50, s50, -1
	s_waitcnt vmcnt(1)
	v_div_scale_f64 v[15:16], null, v[8:9], v[8:9], v[11:12]
	v_div_scale_f64 v[21:22], vcc_lo, v[11:12], v[8:9], v[11:12]
	s_waitcnt vmcnt(0)
	v_add_f64 v[13:14], v[13:14], -v[1:2]
	v_rcp_f64_e32 v[17:18], v[15:16]
	v_fma_f64 v[19:20], -v[15:16], v[17:18], 1.0
	v_fma_f64 v[17:18], v[17:18], v[19:20], v[17:18]
	v_fma_f64 v[19:20], -v[15:16], v[17:18], 1.0
	v_fma_f64 v[17:18], v[17:18], v[19:20], v[17:18]
	v_mul_f64 v[19:20], v[21:22], v[17:18]
	v_fma_f64 v[15:16], -v[15:16], v[19:20], v[21:22]
	v_div_fmas_f64 v[15:16], v[15:16], v[17:18], v[19:20]
	v_div_fixup_f64 v[8:9], v[15:16], v[8:9], v[11:12]
	v_add_f64 v[8:9], v[13:14], -v[8:9]
	v_cmp_ge_f64_e32 vcc_lo, s[8:9], v[8:9]
	v_cmp_gt_f64_e64 s51, v[8:9], -s[8:9]
	v_add_co_ci_u32_e64 v5, null, 0, v5, vcc_lo
	s_and_b32 s51, vcc_lo, s51
	s_add_u32 s46, s46, 8
	v_cndmask_b32_e64 v9, v9, s49, s51
	v_cndmask_b32_e64 v8, v8, s8, s51
	s_addc_u32 s47, s47, 0
	s_add_u32 s2, s2, 8
	s_addc_u32 s3, s3, 0
	s_cmp_lg_u32 s50, 0
	s_cbranch_scc1 .LBB16_76
.LBB16_77:
	s_inst_prefetch 0x2
	v_add_f64 v[3:4], v[6:7], v[3:4]
	s_andn2_b32 vcc_lo, exec_lo, s48
	v_add_f64 v[7:8], v[6:7], -v[3:4]
	v_cmp_ge_f64_e64 s2, s[8:9], v[7:8]
	v_cndmask_b32_e64 v6, 0, 1, s2
	s_cbranch_vccnz .LBB16_80
; %bb.78:
	v_cmp_gt_f64_e64 s3, v[7:8], -s[8:9]
	s_xor_b32 s48, s9, 0x80000000
	v_mov_b32_e32 v9, 0
	s_mov_b64 s[46:47], s[22:23]
	s_and_b32 s2, s2, s3
	s_add_u32 s3, s38, s40
	v_cndmask_b32_e64 v8, v8, s48, s2
	v_cndmask_b32_e64 v7, v7, s8, s2
	s_addc_u32 s2, s39, s41
	s_add_u32 s3, s36, s3
	s_addc_u32 s49, s37, s2
	s_add_u32 s2, s3, 8
	s_addc_u32 s3, s49, 0
	s_mov_b32 s49, s33
	s_inst_prefetch 0x1
	.p2align	6
.LBB16_79:                              ; =>This Inner Loop Header: Depth=1
	s_clause 0x1
	global_load_dwordx2 v[10:11], v9, s[46:47]
	global_load_dwordx2 v[12:13], v9, s[2:3]
	s_add_i32 s49, s49, -1
	s_waitcnt vmcnt(1)
	v_div_scale_f64 v[14:15], null, v[7:8], v[7:8], v[10:11]
	v_div_scale_f64 v[20:21], vcc_lo, v[10:11], v[7:8], v[10:11]
	s_waitcnt vmcnt(0)
	v_add_f64 v[12:13], v[12:13], -v[3:4]
	v_rcp_f64_e32 v[16:17], v[14:15]
	v_fma_f64 v[18:19], -v[14:15], v[16:17], 1.0
	v_fma_f64 v[16:17], v[16:17], v[18:19], v[16:17]
	v_fma_f64 v[18:19], -v[14:15], v[16:17], 1.0
	v_fma_f64 v[16:17], v[16:17], v[18:19], v[16:17]
	v_mul_f64 v[18:19], v[20:21], v[16:17]
	v_fma_f64 v[14:15], -v[14:15], v[18:19], v[20:21]
	v_div_fmas_f64 v[14:15], v[14:15], v[16:17], v[18:19]
	v_div_fixup_f64 v[7:8], v[14:15], v[7:8], v[10:11]
	v_add_f64 v[7:8], v[12:13], -v[7:8]
	v_cmp_ge_f64_e32 vcc_lo, s[8:9], v[7:8]
	v_cmp_gt_f64_e64 s50, v[7:8], -s[8:9]
	v_add_co_ci_u32_e64 v6, null, 0, v6, vcc_lo
	s_and_b32 s50, vcc_lo, s50
	s_add_u32 s2, s2, 8
	v_cndmask_b32_e64 v8, v8, s48, s50
	v_cndmask_b32_e64 v7, v7, s8, s50
	s_addc_u32 s3, s3, 0
	s_add_u32 s46, s46, 8
	s_addc_u32 s47, s47, 0
	s_cmp_lg_u32 s49, 0
	s_cbranch_scc1 .LBB16_79
.LBB16_80:
	s_inst_prefetch 0x2
	v_mov_b32_e32 v7, 0
	global_store_dwordx4 v7, v[1:4], s[10:11]
	global_store_dwordx2 v7, v[5:6], s[16:17]
.LBB16_81:
	s_or_b32 exec_lo, exec_lo, s13
	v_add_nc_u32_e32 v4, 1, v0
	s_mov_b32 s13, exec_lo
	v_cmpx_gt_i32_e64 s33, v4
	s_cbranch_execz .LBB16_88
; %bb.82:
	s_add_u32 s2, s38, s40
	s_addc_u32 s3, s39, s41
	s_add_u32 s2, s36, s2
	v_mov_b32_e32 v5, 0
	s_addc_u32 s3, s37, s3
	s_add_u32 s46, s2, 8
	s_addc_u32 s47, s3, 0
	s_mov_b32 s50, 0
	s_xor_b32 s51, s9, 0x80000000
.LBB16_83:                              ; =>This Loop Header: Depth=1
                                        ;     Child Loop BB16_84 Depth 2
                                        ;     Child Loop BB16_86 Depth 2
	v_lshlrev_b64 v[0:1], 3, v[4:5]
	s_mov_b32 s52, 1
	s_mov_b64 s[48:49], s[46:47]
	v_add_co_u32 v2, vcc_lo, s42, v0
	v_add_co_ci_u32_e64 v3, null, s43, v1, vcc_lo
	v_add_co_u32 v0, vcc_lo, s44, v0
	v_add_co_ci_u32_e64 v1, null, s45, v1, vcc_lo
	global_load_dwordx4 v[9:12], v[2:3], off offset:-8
	s_clause 0x1
	global_load_dwordx2 v[2:3], v[0:1], off
	global_load_dwordx2 v[7:8], v5, s[44:45]
	s_waitcnt vmcnt(2)
	v_add_f64 v[9:10], |v[11:12]|, |v[9:10]|
	s_waitcnt vmcnt(1)
	v_add_f64 v[0:1], v[2:3], -v[9:10]
	s_waitcnt vmcnt(0)
	v_add_f64 v[11:12], v[7:8], -v[0:1]
	v_cmp_gt_f64_e64 s2, v[11:12], -s[8:9]
	v_cmp_ge_f64_e32 vcc_lo, s[8:9], v[11:12]
	s_and_b32 s2, vcc_lo, s2
	v_cndmask_b32_e64 v6, 0, 1, vcc_lo
	v_cndmask_b32_e64 v12, v12, s51, s2
	v_cndmask_b32_e64 v11, v11, s8, s2
	s_mov_b64 s[2:3], s[22:23]
	s_inst_prefetch 0x1
	.p2align	6
.LBB16_84:                              ;   Parent Loop BB16_83 Depth=1
                                        ; =>  This Inner Loop Header: Depth=2
	s_clause 0x1
	global_load_dwordx2 v[13:14], v5, s[2:3]
	global_load_dwordx2 v[15:16], v5, s[48:49]
	s_add_i32 s52, s52, 1
	s_waitcnt vmcnt(1)
	v_div_scale_f64 v[17:18], null, v[11:12], v[11:12], v[13:14]
	v_div_scale_f64 v[23:24], vcc_lo, v[13:14], v[11:12], v[13:14]
	s_waitcnt vmcnt(0)
	v_add_f64 v[15:16], v[15:16], -v[0:1]
	v_rcp_f64_e32 v[19:20], v[17:18]
	v_fma_f64 v[21:22], -v[17:18], v[19:20], 1.0
	v_fma_f64 v[19:20], v[19:20], v[21:22], v[19:20]
	v_fma_f64 v[21:22], -v[17:18], v[19:20], 1.0
	v_fma_f64 v[19:20], v[19:20], v[21:22], v[19:20]
	v_mul_f64 v[21:22], v[23:24], v[19:20]
	v_fma_f64 v[17:18], -v[17:18], v[21:22], v[23:24]
	v_div_fmas_f64 v[17:18], v[17:18], v[19:20], v[21:22]
	v_div_fixup_f64 v[11:12], v[17:18], v[11:12], v[13:14]
	v_add_f64 v[11:12], v[15:16], -v[11:12]
	v_cmp_ge_f64_e32 vcc_lo, s[8:9], v[11:12]
	v_cmp_gt_f64_e64 s53, v[11:12], -s[8:9]
	v_add_co_ci_u32_e64 v6, null, 0, v6, vcc_lo
	s_and_b32 s53, vcc_lo, s53
	s_add_u32 s48, s48, 8
	v_cndmask_b32_e64 v12, v12, s51, s53
	v_cndmask_b32_e64 v11, v11, s8, s53
	s_addc_u32 s49, s49, 0
	s_add_u32 s2, s2, 8
	s_addc_u32 s3, s3, 0
	s_cmp_lg_u32 s7, s52
	s_cbranch_scc1 .LBB16_84
; %bb.85:                               ;   in Loop: Header=BB16_83 Depth=1
	s_inst_prefetch 0x2
	v_add_f64 v[2:3], v[2:3], v[9:10]
	s_mov_b64 s[48:49], s[46:47]
	s_mov_b32 s52, s33
	v_add_f64 v[8:9], v[7:8], -v[2:3]
	v_cmp_gt_f64_e64 s2, v[8:9], -s[8:9]
	v_cmp_ge_f64_e32 vcc_lo, s[8:9], v[8:9]
	s_and_b32 s2, vcc_lo, s2
	v_cndmask_b32_e64 v7, 0, 1, vcc_lo
	v_cndmask_b32_e64 v9, v9, s51, s2
	v_cndmask_b32_e64 v8, v8, s8, s2
	s_mov_b64 s[2:3], s[22:23]
	s_inst_prefetch 0x1
	.p2align	6
.LBB16_86:                              ;   Parent Loop BB16_83 Depth=1
                                        ; =>  This Inner Loop Header: Depth=2
	s_clause 0x1
	global_load_dwordx2 v[10:11], v5, s[2:3]
	global_load_dwordx2 v[12:13], v5, s[48:49]
	s_add_i32 s52, s52, -1
	s_waitcnt vmcnt(1)
	v_div_scale_f64 v[14:15], null, v[8:9], v[8:9], v[10:11]
	v_div_scale_f64 v[20:21], vcc_lo, v[10:11], v[8:9], v[10:11]
	s_waitcnt vmcnt(0)
	v_add_f64 v[12:13], v[12:13], -v[2:3]
	v_rcp_f64_e32 v[16:17], v[14:15]
	v_fma_f64 v[18:19], -v[14:15], v[16:17], 1.0
	v_fma_f64 v[16:17], v[16:17], v[18:19], v[16:17]
	v_fma_f64 v[18:19], -v[14:15], v[16:17], 1.0
	v_fma_f64 v[16:17], v[16:17], v[18:19], v[16:17]
	v_mul_f64 v[18:19], v[20:21], v[16:17]
	v_fma_f64 v[14:15], -v[14:15], v[18:19], v[20:21]
	v_div_fmas_f64 v[14:15], v[14:15], v[16:17], v[18:19]
	v_div_fixup_f64 v[8:9], v[14:15], v[8:9], v[10:11]
	v_add_f64 v[8:9], v[12:13], -v[8:9]
	v_cmp_ge_f64_e32 vcc_lo, s[8:9], v[8:9]
	v_cmp_gt_f64_e64 s53, v[8:9], -s[8:9]
	v_add_co_ci_u32_e64 v7, null, 0, v7, vcc_lo
	s_and_b32 s53, vcc_lo, s53
	s_add_u32 s48, s48, 8
	v_cndmask_b32_e64 v9, v9, s51, s53
	v_cndmask_b32_e64 v8, v8, s8, s53
	s_addc_u32 s49, s49, 0
	s_add_u32 s2, s2, 8
	s_addc_u32 s3, s3, 0
	s_cmp_lg_u32 s52, 0
	s_cbranch_scc1 .LBB16_86
; %bb.87:                               ;   in Loop: Header=BB16_83 Depth=1
	s_inst_prefetch 0x2
	v_lshlrev_b32_e32 v8, 1, v4
	v_mov_b32_e32 v9, v5
	v_add_nc_u32_e32 v4, 0x100, v4
	v_lshlrev_b64 v[10:11], 3, v[8:9]
	v_lshlrev_b64 v[8:9], 2, v[8:9]
	v_cmp_le_i32_e32 vcc_lo, s33, v4
	v_add_co_u32 v10, s2, s10, v10
	v_add_co_ci_u32_e64 v11, null, s11, v11, s2
	v_add_co_u32 v8, s2, s16, v8
	v_add_co_ci_u32_e64 v9, null, s17, v9, s2
	s_or_b32 s50, vcc_lo, s50
	global_store_dwordx4 v[10:11], v[0:3], off
	global_store_dwordx2 v[8:9], v[6:7], off
	s_andn2_b32 exec_lo, exec_lo, s50
	s_cbranch_execnz .LBB16_83
.LBB16_88:
	s_or_b32 exec_lo, exec_lo, s13
	s_and_saveexec_b32 s46, s1
	s_cbranch_execz .LBB16_96
; %bb.89:
	s_ashr_i32 s3, s7, 31
	s_mov_b32 s2, s7
	v_mov_b32_e32 v11, 0
	s_lshl_b64 s[2:3], s[2:3], 3
	s_add_u32 s48, s44, s2
	s_addc_u32 s49, s45, s3
	s_add_u32 s2, s42, s2
	s_addc_u32 s3, s43, s3
	s_clause 0x2
	global_load_dwordx2 v[2:3], v11, s[48:49] offset:-8
	global_load_dwordx2 v[5:6], v11, s[2:3] offset:-16
	global_load_dwordx2 v[7:8], v11, s[44:45]
	s_cmp_gt_i32 s7, 1
	s_cselect_b32 s13, -1, 0
	s_cmp_lt_i32 s7, 2
	s_waitcnt vmcnt(1)
	v_add_f64 v[0:1], v[2:3], -|v[5:6]|
	v_and_b32_e32 v6, 0x7fffffff, v6
	s_waitcnt vmcnt(0)
	v_add_f64 v[9:10], v[7:8], -v[0:1]
	v_cmp_ge_f64_e32 vcc_lo, s[8:9], v[9:10]
	v_cndmask_b32_e64 v4, 0, 1, vcc_lo
	s_cbranch_scc1 .LBB16_92
; %bb.90:
	v_cmp_gt_f64_e64 s42, v[9:10], -s[8:9]
	s_xor_b32 s1, s9, 0x80000000
	s_mov_b64 s[2:3], s[22:23]
	s_and_b32 s42, vcc_lo, s42
	s_add_u32 s43, s38, s40
	v_cndmask_b32_e64 v10, v10, s1, s42
	v_cndmask_b32_e64 v9, v9, s8, s42
	s_addc_u32 s42, s39, s41
	s_add_u32 s43, s36, s43
	s_addc_u32 s44, s37, s42
	s_add_u32 s42, s43, 8
	s_addc_u32 s43, s44, 0
	s_mov_b32 s44, s33
	s_inst_prefetch 0x1
	.p2align	6
.LBB16_91:                              ; =>This Inner Loop Header: Depth=1
	s_clause 0x1
	global_load_dwordx2 v[12:13], v11, s[2:3]
	global_load_dwordx2 v[14:15], v11, s[42:43]
	s_add_i32 s44, s44, -1
	s_waitcnt vmcnt(1)
	v_div_scale_f64 v[16:17], null, v[9:10], v[9:10], v[12:13]
	v_div_scale_f64 v[22:23], vcc_lo, v[12:13], v[9:10], v[12:13]
	s_waitcnt vmcnt(0)
	v_add_f64 v[14:15], v[14:15], -v[0:1]
	v_rcp_f64_e32 v[18:19], v[16:17]
	v_fma_f64 v[20:21], -v[16:17], v[18:19], 1.0
	v_fma_f64 v[18:19], v[18:19], v[20:21], v[18:19]
	v_fma_f64 v[20:21], -v[16:17], v[18:19], 1.0
	v_fma_f64 v[18:19], v[18:19], v[20:21], v[18:19]
	v_mul_f64 v[20:21], v[22:23], v[18:19]
	v_fma_f64 v[16:17], -v[16:17], v[20:21], v[22:23]
	v_div_fmas_f64 v[16:17], v[16:17], v[18:19], v[20:21]
	v_div_fixup_f64 v[9:10], v[16:17], v[9:10], v[12:13]
	v_add_f64 v[9:10], v[14:15], -v[9:10]
	v_cmp_ge_f64_e32 vcc_lo, s[8:9], v[9:10]
	v_cmp_gt_f64_e64 s45, v[9:10], -s[8:9]
	v_add_co_ci_u32_e64 v4, null, 0, v4, vcc_lo
	s_and_b32 s45, vcc_lo, s45
	s_add_u32 s42, s42, 8
	v_cndmask_b32_e64 v10, v10, s1, s45
	v_cndmask_b32_e64 v9, v9, s8, s45
	s_addc_u32 s43, s43, 0
	s_add_u32 s2, s2, 8
	s_addc_u32 s3, s3, 0
	s_cmp_lg_u32 s44, 0
	s_cbranch_scc1 .LBB16_91
.LBB16_92:
	s_inst_prefetch 0x2
	v_add_f64 v[2:3], v[2:3], v[5:6]
	s_andn2_b32 vcc_lo, exec_lo, s13
	v_add_f64 v[6:7], v[7:8], -v[2:3]
	v_cmp_ge_f64_e64 s1, s[8:9], v[6:7]
	v_cndmask_b32_e64 v5, 0, 1, s1
	s_cbranch_vccnz .LBB16_95
; %bb.93:
	v_cmp_gt_f64_e64 s2, v[6:7], -s[8:9]
	s_xor_b32 s13, s9, 0x80000000
	v_mov_b32_e32 v8, 0
	s_and_b32 s1, s1, s2
	s_add_u32 s2, s38, s40
	v_cndmask_b32_e64 v7, v7, s13, s1
	v_cndmask_b32_e64 v6, v6, s8, s1
	s_addc_u32 s1, s39, s41
	s_add_u32 s2, s36, s2
	s_addc_u32 s1, s37, s1
	s_add_u32 s2, s2, 8
	s_addc_u32 s3, s1, 0
	s_inst_prefetch 0x1
	.p2align	6
.LBB16_94:                              ; =>This Inner Loop Header: Depth=1
	s_clause 0x1
	global_load_dwordx2 v[9:10], v8, s[22:23]
	global_load_dwordx2 v[11:12], v8, s[2:3]
	s_add_i32 s33, s33, -1
	s_waitcnt vmcnt(1)
	v_div_scale_f64 v[13:14], null, v[6:7], v[6:7], v[9:10]
	v_div_scale_f64 v[19:20], vcc_lo, v[9:10], v[6:7], v[9:10]
	s_waitcnt vmcnt(0)
	v_add_f64 v[11:12], v[11:12], -v[2:3]
	v_rcp_f64_e32 v[15:16], v[13:14]
	v_fma_f64 v[17:18], -v[13:14], v[15:16], 1.0
	v_fma_f64 v[15:16], v[15:16], v[17:18], v[15:16]
	v_fma_f64 v[17:18], -v[13:14], v[15:16], 1.0
	v_fma_f64 v[15:16], v[15:16], v[17:18], v[15:16]
	v_mul_f64 v[17:18], v[19:20], v[15:16]
	v_fma_f64 v[13:14], -v[13:14], v[17:18], v[19:20]
	v_div_fmas_f64 v[13:14], v[13:14], v[15:16], v[17:18]
	v_div_fixup_f64 v[6:7], v[13:14], v[6:7], v[9:10]
	v_add_f64 v[6:7], v[11:12], -v[6:7]
	v_cmp_ge_f64_e32 vcc_lo, s[8:9], v[6:7]
	v_cmp_gt_f64_e64 s1, v[6:7], -s[8:9]
	v_add_co_ci_u32_e64 v5, null, 0, v5, vcc_lo
	s_and_b32 s1, vcc_lo, s1
	s_add_u32 s2, s2, 8
	v_cndmask_b32_e64 v7, v7, s13, s1
	v_cndmask_b32_e64 v6, v6, s8, s1
	s_addc_u32 s3, s3, 0
	s_add_u32 s22, s22, 8
	s_addc_u32 s23, s23, 0
	s_cmp_lg_u32 s33, 0
	s_cbranch_scc1 .LBB16_94
.LBB16_95:
	s_inst_prefetch 0x2
	s_ashr_i32 s13, s12, 31
	v_mov_b32_e32 v6, 0
	s_lshl_b64 s[2:3], s[12:13], 3
	s_add_u32 s2, s10, s2
	s_addc_u32 s3, s11, s3
	s_lshl_b64 s[22:23], s[12:13], 2
	s_add_u32 s22, s16, s22
	s_addc_u32 s23, s17, s23
	global_store_dwordx4 v6, v[0:3], s[2:3] offset:-16
	global_store_dwordx2 v6, v[4:5], s[22:23] offset:-8
.LBB16_96:
	s_or_b32 exec_lo, exec_lo, s46
	s_mov_b32 s38, 0
	s_waitcnt_vscnt null, 0x0
	s_barrier
	buffer_gl0_inv
                                        ; implicit-def: $vgpr3_vgpr4
                                        ; implicit-def: $vgpr1_vgpr2
	s_and_saveexec_b32 s1, s0
	s_cbranch_execz .LBB16_120
; %bb.97:
	s_cmp_gt_i32 s7, 0
	s_mov_b32 s2, 1
	s_cselect_b32 s33, -1, 0
	s_cmp_lt_i32 s7, 1
	s_cbranch_scc1 .LBB16_105
; %bb.98:
	s_cmp_lg_u64 s[28:29], 0
	v_mov_b32_e32 v4, 0
	s_cselect_b32 s13, -1, 0
	s_add_u32 s3, s26, s18
	s_addc_u32 s19, s27, s19
	s_add_u32 s18, s3, 8
	s_addc_u32 s19, s19, 0
	s_branch .LBB16_100
.LBB16_99:                              ;   in Loop: Header=BB16_100 Depth=1
	s_add_i32 s2, s2, 1
	s_add_u32 s18, s18, 8
	s_addc_u32 s19, s19, 0
	s_cmp_lg_u32 s2, s12
	s_cbranch_scc0 .LBB16_105
.LBB16_100:                             ; =>This Loop Header: Depth=1
                                        ;     Child Loop BB16_101 Depth 2
	s_ashr_i32 s3, s2, 31
	s_add_i32 s27, s2, -1
	s_lshl_b64 s[22:23], s[2:3], 3
	s_mov_b64 s[36:37], s[18:19]
	s_add_u32 s22, s10, s22
	s_addc_u32 s23, s11, s23
	s_mov_b32 s38, s2
	global_load_dwordx2 v[0:1], v4, s[22:23] offset:-8
	s_mov_b32 s26, s27
	s_waitcnt vmcnt(0)
	v_mov_b32_e32 v3, v1
	v_mov_b32_e32 v2, v0
.LBB16_101:                             ;   Parent Loop BB16_100 Depth=1
                                        ; =>  This Inner Loop Header: Depth=2
	global_load_dwordx2 v[5:6], v4, s[36:37]
	s_waitcnt vmcnt(0)
	v_cmp_lt_f64_e32 vcc_lo, v[5:6], v[2:3]
	s_and_b32 s39, vcc_lo, exec_lo
	v_cndmask_b32_e32 v3, v3, v6, vcc_lo
	v_cndmask_b32_e32 v2, v2, v5, vcc_lo
	s_cselect_b32 s26, s38, s26
	s_add_i32 s38, s38, 1
	s_add_u32 s36, s36, 8
	s_addc_u32 s37, s37, 0
	s_cmp_eq_u32 s12, s38
	s_cbranch_scc0 .LBB16_101
; %bb.102:                              ;   in Loop: Header=BB16_100 Depth=1
	s_cmp_lg_u32 s26, s27
	s_cbranch_scc0 .LBB16_99
; %bb.103:                              ;   in Loop: Header=BB16_100 Depth=1
	s_ashr_i32 s27, s26, 31
	s_lshl_b64 s[36:37], s[26:27], 3
	s_add_u32 s36, s10, s36
	s_addc_u32 s37, s11, s37
	s_andn2_b32 vcc_lo, exec_lo, s13
	global_store_dwordx2 v4, v[0:1], s[36:37]
	global_store_dwordx2 v4, v[2:3], s[22:23] offset:-8
	s_cbranch_vccnz .LBB16_99
; %bb.104:                              ;   in Loop: Header=BB16_100 Depth=1
	s_lshl_b64 s[22:23], s[2:3], 2
	s_add_u32 s22, s16, s22
	s_addc_u32 s23, s17, s23
	s_lshl_b64 s[26:27], s[26:27], 2
	s_add_u32 s26, s16, s26
	s_addc_u32 s27, s17, s27
	s_clause 0x1
	global_load_dword v0, v4, s[22:23] offset:-4
	global_load_dword v1, v4, s[26:27]
	s_waitcnt vmcnt(1)
	global_store_dword v4, v0, s[26:27]
	s_waitcnt vmcnt(0)
	global_store_dword v4, v1, s[22:23] offset:-4
	s_branch .LBB16_99
.LBB16_105:
	s_ashr_i32 s13, s12, 31
	v_mov_b32_e32 v0, 0
	s_lshl_b64 s[2:3], s[12:13], 3
	v_cvt_f64_i32_e32 v[7:8], s7
	s_add_u32 s16, s10, s2
	s_addc_u32 s17, s11, s3
	s_clause 0x1
	global_load_dwordx2 v[1:2], v0, s[10:11]
	global_load_dwordx2 v[3:4], v0, s[16:17] offset:-8
	s_load_dwordx2 s[2:3], s[4:5], 0x18
	s_waitcnt vmcnt(0)
	v_cmp_lt_f64_e64 vcc_lo, |v[1:2]|, |v[3:4]|
	v_cndmask_b32_e32 v6, v2, v4, vcc_lo
	v_cndmask_b32_e32 v5, v1, v3, vcc_lo
	s_andn2_b32 vcc_lo, exec_lo, s33
	v_mul_f64 v[5:6], s[30:31], |v[5:6]|
	v_fma_f64 v[1:2], -v[5:6], v[7:8], v[1:2]
	v_fma_f64 v[3:4], v[5:6], v[7:8], v[3:4]
	v_add_f64 v[1:2], v[1:2], -s[8:9]
	v_add_f64 v[4:5], s[8:9], v[3:4]
	v_cndmask_b32_e64 v3, 0, 1, s33
	global_store_dwordx2 v0, v[1:2], s[10:11]
	global_store_dwordx2 v0, v[4:5], s[16:17] offset:-8
	s_cbranch_vccnz .LBB16_111
; %bb.106:
	s_max_i32 s7, s12, 2
	s_mov_b32 s13, 0
	s_add_i32 s7, s7, -1
	s_add_u32 s4, s28, s14
	s_addc_u32 s5, s29, s15
	s_add_u32 s4, s4, 4
	s_addc_u32 s5, s5, 0
	s_branch .LBB16_108
	.p2align	6
.LBB16_107:                             ;   in Loop: Header=BB16_108 Depth=1
	s_add_i32 s13, s13, 1
	s_add_u32 s4, s4, 4
	s_addc_u32 s5, s5, 0
	s_cmp_eq_u32 s7, s13
	s_mov_b32 s16, s7
	s_cselect_b32 s17, -1, 0
	s_andn2_b32 vcc_lo, exec_lo, s17
	s_cbranch_vccz .LBB16_110
.LBB16_108:                             ; =>This Inner Loop Header: Depth=1
	global_load_dword v1, v0, s[4:5]
	s_waitcnt vmcnt(0) lgkmcnt(0)
	v_cmp_le_i32_e32 vcc_lo, s2, v1
	s_cbranch_vccz .LBB16_107
; %bb.109:
	s_mov_b32 s16, s13
                                        ; implicit-def: $sgpr4_sgpr5
.LBB16_110:
	s_mov_b32 s17, 0
	s_branch .LBB16_112
.LBB16_111:
	s_mov_b64 s[16:17], 0
.LBB16_112:
	s_lshl_b64 s[4:5], s[16:17], 3
	v_mov_b32_e32 v0, 0
	s_add_u32 s4, s10, s4
	s_addc_u32 s5, s11, s5
	v_cmp_ne_u32_e32 vcc_lo, 1, v3
	s_mov_b32 s7, 1
	global_load_dwordx2 v[1:2], v0, s[4:5]
	s_cbranch_vccnz .LBB16_118
; %bb.113:
	s_max_i32 s12, s12, 2
	s_add_i32 s13, s12, -1
	s_waitcnt lgkmcnt(0)
	s_add_u32 s2, s28, s14
	s_addc_u32 s5, s29, s15
	s_add_u32 s4, s2, 4
	s_addc_u32 s5, s5, 0
	s_branch .LBB16_115
	.p2align	6
.LBB16_114:
	s_mov_b32 s2, s7
                                        ; implicit-def: $sgpr4_sgpr5
	s_branch .LBB16_117
.LBB16_115:                             ; =>This Inner Loop Header: Depth=1
	global_load_dword v3, v0, s[4:5]
	s_waitcnt vmcnt(0)
	v_cmp_gt_i32_e32 vcc_lo, s3, v3
	s_cbranch_vccz .LBB16_114
; %bb.116:                              ;   in Loop: Header=BB16_115 Depth=1
	s_add_i32 s7, s7, 1
	s_add_u32 s4, s4, 4
	s_addc_u32 s5, s5, 0
	s_cmp_eq_u32 s12, s7
	s_mov_b32 s2, s13
	s_cselect_b32 s14, -1, 0
	s_andn2_b32 vcc_lo, exec_lo, s14
	s_cbranch_vccnz .LBB16_115
.LBB16_117:
	s_ashr_i32 s3, s2, 31
	s_branch .LBB16_119
.LBB16_118:
	s_waitcnt lgkmcnt(0)
	s_mov_b64 s[2:3], 0
.LBB16_119:
	s_lshl_b64 s[2:3], s[2:3], 3
	v_mov_b32_e32 v0, 0
	s_add_u32 s2, s10, s2
	s_addc_u32 s3, s11, s3
	s_mov_b32 s38, exec_lo
	global_load_dwordx2 v[3:4], v0, s[2:3]
.LBB16_120:
	s_or_b32 exec_lo, exec_lo, s1
.LBB16_121:
	s_and_saveexec_b32 s1, s38
	s_cbranch_execz .LBB16_124
; %bb.122:
	s_and_b32 exec_lo, exec_lo, s0
	s_cbranch_execz .LBB16_124
; %bb.123:
	s_lshl_b64 s[0:1], s[34:35], 3
	v_mov_b32_e32 v5, s8
	s_add_u32 s0, s20, s0
	s_addc_u32 s1, s21, s1
	s_lshl_b32 s2, s34, 1
	v_mov_b32_e32 v0, 0
	s_ashr_i32 s3, s2, 31
	v_mov_b32_e32 v6, s9
	s_lshl_b64 s[2:3], s[2:3], 3
	s_add_u32 s2, s24, s2
	s_addc_u32 s3, s25, s3
	s_cmpk_eq_i32 s6, 0xe7
	s_cselect_b32 s4, -1, 0
	s_waitcnt vmcnt(0)
	v_cndmask_b32_e64 v4, v4, 0, s4
	v_cndmask_b32_e64 v3, v3, 0, s4
	;; [unrolled: 1-line block ×4, first 2 shown]
	global_store_dwordx2 v0, v[5:6], s[0:1]
	global_store_dwordx4 v0, v[1:4], s[2:3]
.LBB16_124:
	s_endpgm
	.section	.rodata,"a",@progbits
	.p2align	6, 0x0
	.amdhsa_kernel _ZN9rocsolver6v33100L22stebz_splitting_kernelIdPdEEv15rocblas_erange_iT_S4_iiT0_iiS5_iiPiPS4_lS6_lS6_S7_S7_S7_S7_S6_S4_S4_
		.amdhsa_group_segment_fixed_size 3072
		.amdhsa_private_segment_fixed_size 0
		.amdhsa_kernarg_size 168
		.amdhsa_user_sgpr_count 6
		.amdhsa_user_sgpr_private_segment_buffer 1
		.amdhsa_user_sgpr_dispatch_ptr 0
		.amdhsa_user_sgpr_queue_ptr 0
		.amdhsa_user_sgpr_kernarg_segment_ptr 1
		.amdhsa_user_sgpr_dispatch_id 0
		.amdhsa_user_sgpr_flat_scratch_init 0
		.amdhsa_user_sgpr_private_segment_size 0
		.amdhsa_wavefront_size32 1
		.amdhsa_uses_dynamic_stack 0
		.amdhsa_system_sgpr_private_segment_wavefront_offset 0
		.amdhsa_system_sgpr_workgroup_id_x 1
		.amdhsa_system_sgpr_workgroup_id_y 1
		.amdhsa_system_sgpr_workgroup_id_z 0
		.amdhsa_system_sgpr_workgroup_info 0
		.amdhsa_system_vgpr_workitem_id 0
		.amdhsa_next_free_vgpr 26
		.amdhsa_next_free_sgpr 54
		.amdhsa_reserve_vcc 1
		.amdhsa_reserve_flat_scratch 0
		.amdhsa_float_round_mode_32 0
		.amdhsa_float_round_mode_16_64 0
		.amdhsa_float_denorm_mode_32 3
		.amdhsa_float_denorm_mode_16_64 3
		.amdhsa_dx10_clamp 1
		.amdhsa_ieee_mode 1
		.amdhsa_fp16_overflow 0
		.amdhsa_workgroup_processor_mode 1
		.amdhsa_memory_ordered 1
		.amdhsa_forward_progress 1
		.amdhsa_shared_vgpr_count 0
		.amdhsa_exception_fp_ieee_invalid_op 0
		.amdhsa_exception_fp_denorm_src 0
		.amdhsa_exception_fp_ieee_div_zero 0
		.amdhsa_exception_fp_ieee_overflow 0
		.amdhsa_exception_fp_ieee_underflow 0
		.amdhsa_exception_fp_ieee_inexact 0
		.amdhsa_exception_int_div_zero 0
	.end_amdhsa_kernel
	.section	.text._ZN9rocsolver6v33100L22stebz_splitting_kernelIdPdEEv15rocblas_erange_iT_S4_iiT0_iiS5_iiPiPS4_lS6_lS6_S7_S7_S7_S7_S6_S4_S4_,"axG",@progbits,_ZN9rocsolver6v33100L22stebz_splitting_kernelIdPdEEv15rocblas_erange_iT_S4_iiT0_iiS5_iiPiPS4_lS6_lS6_S7_S7_S7_S7_S6_S4_S4_,comdat
.Lfunc_end16:
	.size	_ZN9rocsolver6v33100L22stebz_splitting_kernelIdPdEEv15rocblas_erange_iT_S4_iiT0_iiS5_iiPiPS4_lS6_lS6_S7_S7_S7_S7_S6_S4_S4_, .Lfunc_end16-_ZN9rocsolver6v33100L22stebz_splitting_kernelIdPdEEv15rocblas_erange_iT_S4_iiT0_iiS5_iiPiPS4_lS6_lS6_S7_S7_S7_S7_S6_S4_S4_
                                        ; -- End function
	.set _ZN9rocsolver6v33100L22stebz_splitting_kernelIdPdEEv15rocblas_erange_iT_S4_iiT0_iiS5_iiPiPS4_lS6_lS6_S7_S7_S7_S7_S6_S4_S4_.num_vgpr, 26
	.set _ZN9rocsolver6v33100L22stebz_splitting_kernelIdPdEEv15rocblas_erange_iT_S4_iiT0_iiS5_iiPiPS4_lS6_lS6_S7_S7_S7_S7_S6_S4_S4_.num_agpr, 0
	.set _ZN9rocsolver6v33100L22stebz_splitting_kernelIdPdEEv15rocblas_erange_iT_S4_iiT0_iiS5_iiPiPS4_lS6_lS6_S7_S7_S7_S7_S6_S4_S4_.numbered_sgpr, 54
	.set _ZN9rocsolver6v33100L22stebz_splitting_kernelIdPdEEv15rocblas_erange_iT_S4_iiT0_iiS5_iiPiPS4_lS6_lS6_S7_S7_S7_S7_S6_S4_S4_.num_named_barrier, 0
	.set _ZN9rocsolver6v33100L22stebz_splitting_kernelIdPdEEv15rocblas_erange_iT_S4_iiT0_iiS5_iiPiPS4_lS6_lS6_S7_S7_S7_S7_S6_S4_S4_.private_seg_size, 0
	.set _ZN9rocsolver6v33100L22stebz_splitting_kernelIdPdEEv15rocblas_erange_iT_S4_iiT0_iiS5_iiPiPS4_lS6_lS6_S7_S7_S7_S7_S6_S4_S4_.uses_vcc, 1
	.set _ZN9rocsolver6v33100L22stebz_splitting_kernelIdPdEEv15rocblas_erange_iT_S4_iiT0_iiS5_iiPiPS4_lS6_lS6_S7_S7_S7_S7_S6_S4_S4_.uses_flat_scratch, 0
	.set _ZN9rocsolver6v33100L22stebz_splitting_kernelIdPdEEv15rocblas_erange_iT_S4_iiT0_iiS5_iiPiPS4_lS6_lS6_S7_S7_S7_S7_S6_S4_S4_.has_dyn_sized_stack, 0
	.set _ZN9rocsolver6v33100L22stebz_splitting_kernelIdPdEEv15rocblas_erange_iT_S4_iiT0_iiS5_iiPiPS4_lS6_lS6_S7_S7_S7_S7_S6_S4_S4_.has_recursion, 0
	.set _ZN9rocsolver6v33100L22stebz_splitting_kernelIdPdEEv15rocblas_erange_iT_S4_iiT0_iiS5_iiPiPS4_lS6_lS6_S7_S7_S7_S7_S6_S4_S4_.has_indirect_call, 0
	.section	.AMDGPU.csdata,"",@progbits
; Kernel info:
; codeLenInByte = 6376
; TotalNumSgprs: 56
; NumVgprs: 26
; ScratchSize: 0
; MemoryBound: 0
; FloatMode: 240
; IeeeMode: 1
; LDSByteSize: 3072 bytes/workgroup (compile time only)
; SGPRBlocks: 0
; VGPRBlocks: 3
; NumSGPRsForWavesPerEU: 56
; NumVGPRsForWavesPerEU: 26
; Occupancy: 16
; WaveLimiterHint : 0
; COMPUTE_PGM_RSRC2:SCRATCH_EN: 0
; COMPUTE_PGM_RSRC2:USER_SGPR: 6
; COMPUTE_PGM_RSRC2:TRAP_HANDLER: 0
; COMPUTE_PGM_RSRC2:TGID_X_EN: 1
; COMPUTE_PGM_RSRC2:TGID_Y_EN: 1
; COMPUTE_PGM_RSRC2:TGID_Z_EN: 0
; COMPUTE_PGM_RSRC2:TIDIG_COMP_CNT: 0
	.section	.text._ZN9rocsolver6v33100L22stebz_bisection_kernelIdPdEEv15rocblas_erange_iT_T0_iiS5_iiPiPS4_lS6_lS6_lS6_S6_S7_S7_S7_S7_S6_S4_S4_,"axG",@progbits,_ZN9rocsolver6v33100L22stebz_bisection_kernelIdPdEEv15rocblas_erange_iT_T0_iiS5_iiPiPS4_lS6_lS6_lS6_S6_S7_S7_S7_S7_S6_S4_S4_,comdat
	.globl	_ZN9rocsolver6v33100L22stebz_bisection_kernelIdPdEEv15rocblas_erange_iT_T0_iiS5_iiPiPS4_lS6_lS6_lS6_S6_S7_S7_S7_S7_S6_S4_S4_ ; -- Begin function _ZN9rocsolver6v33100L22stebz_bisection_kernelIdPdEEv15rocblas_erange_iT_T0_iiS5_iiPiPS4_lS6_lS6_lS6_S6_S7_S7_S7_S7_S6_S4_S4_
	.p2align	8
	.type	_ZN9rocsolver6v33100L22stebz_bisection_kernelIdPdEEv15rocblas_erange_iT_T0_iiS5_iiPiPS4_lS6_lS6_lS6_S6_S7_S7_S7_S7_S6_S4_S4_,@function
_ZN9rocsolver6v33100L22stebz_bisection_kernelIdPdEEv15rocblas_erange_iT_T0_iiS5_iiPiPS4_lS6_lS6_lS6_S6_S7_S7_S7_S7_S6_S4_S4_: ; @_ZN9rocsolver6v33100L22stebz_bisection_kernelIdPdEEv15rocblas_erange_iT_T0_iiS5_iiPiPS4_lS6_lS6_lS6_S6_S7_S7_S7_S7_S6_S4_S4_
; %bb.0:
	s_load_dwordx16 s[8:23], s[4:5], 0x30
	s_mov_b32 s2, s7
	s_ashr_i32 s3, s7, 31
	s_lshl_b64 s[54:55], s[2:3], 2
	s_waitcnt lgkmcnt(0)
	s_add_u32 s0, s8, s54
	s_addc_u32 s1, s9, s55
	s_load_dword s33, s[0:1], 0x0
	s_waitcnt lgkmcnt(0)
	s_cmp_ge_i32 s6, s33
	s_cbranch_scc1 .LBB17_85
; %bb.1:
	s_clause 0x3
	s_load_dwordx8 s[24:31], s[4:5], 0x8
	s_load_dwordx2 s[0:1], s[4:5], 0x28
	s_load_dwordx2 s[34:35], s[4:5], 0x0
	s_load_dwordx8 s[36:43], s[4:5], 0x70
	s_mul_i32 s7, s12, s3
	s_mul_hi_u32 s9, s12, s2
	s_mul_i32 s46, s13, s2
	s_mul_i32 s8, s12, s2
	s_mov_b32 s48, 0x55555780
	s_mov_b32 s50, 0xfefa39ef
	;; [unrolled: 1-line block ×5, first 2 shown]
	v_lshl_or_b32 v19, v0, 2, 0x1800
	v_lshlrev_b32_e32 v20, 5, v0
	v_lshl_or_b32 v21, v0, 4, 0x1000
	v_mov_b32_e32 v22, 0
	v_mov_b32_e32 v23, 1
                                        ; implicit-def: $vgpr24
	s_waitcnt lgkmcnt(0)
	s_mul_hi_i32 s45, s29, s2
	s_mul_i32 s44, s29, s2
	s_ashr_i32 s13, s28, 31
	s_lshl_b64 s[56:57], s[44:45], 3
	s_mov_b32 s12, s28
	s_add_u32 s29, s26, s56
	s_addc_u32 s47, s27, s57
	s_lshl_b64 s[60:61], s[12:13], 3
	s_mul_hi_i32 s45, s1, s2
	s_mul_i32 s44, s1, s2
	s_add_u32 s64, s29, s60
	s_addc_u32 s65, s47, s61
	s_lshl_b64 s[58:59], s[44:45], 3
	s_mov_b32 s28, s0
	s_ashr_i32 s29, s0, 31
	s_add_u32 s0, s30, s58
	s_addc_u32 s1, s31, s59
	s_lshl_b64 s[62:63], s[28:29], 3
	s_mul_i32 s12, s16, s3
	s_add_u32 s66, s0, s62
	s_addc_u32 s67, s1, s63
	s_add_i32 s0, s9, s7
	s_mul_hi_u32 s7, s16, s2
	s_add_i32 s9, s0, s46
	s_mul_i32 s13, s17, s2
	s_lshl_b64 s[0:1], s[8:9], 3
	s_mul_i32 s8, s16, s2
	s_add_u32 s68, s10, s0
	s_addc_u32 s69, s11, s1
	s_add_i32 s0, s7, s12
	s_mul_i32 s7, s20, s3
	s_add_i32 s9, s0, s13
	s_mul_hi_u32 s10, s20, s2
	s_lshl_b64 s[0:1], s[8:9], 2
	s_mul_i32 s8, s21, s2
	s_add_u32 s70, s14, s0
	s_addc_u32 s71, s15, s1
	s_add_i32 s1, s10, s7
	s_mul_i32 s0, s20, s2
	s_add_i32 s1, s1, s8
	s_mov_b32 s20, 0x55555555
	s_lshl_b64 s[0:1], s[0:1], 2
	s_mov_b32 s21, 0x3fe55555
	s_add_u32 s72, s18, s0
	s_addc_u32 s73, s19, s1
	s_add_i32 s0, s35, -1
	s_mov_b32 s28, 0x6b47b09a
	s_mul_i32 s0, s0, s2
	s_mov_b32 s29, 0x3fc38538
	s_ashr_i32 s1, s0, 31
	s_mov_b32 s44, 0x9b27acf1
	s_lshl_b64 s[0:1], s[0:1], 3
	s_mov_b32 s45, 0x3fd24924
	s_add_u32 s74, s40, s0
	s_addc_u32 s75, s41, s1
	s_lshl_b32 s0, s2, 1
	s_mov_b32 s40, 0xd7f4df2e
	s_ashr_i32 s1, s0, 31
	s_mov_b32 s41, 0x3fc7474d
	s_lshl_b64 s[0:1], s[0:1], 3
	s_mov_b32 s46, 0x998ef7b6
	s_add_u32 s16, s42, s0
	s_addc_u32 s17, s43, s1
	s_lshl_b64 s[0:1], s[2:3], 3
	s_mov_b32 s42, 0x16291751
	s_add_u32 s0, s38, s0
	s_addc_u32 s1, s39, s1
	s_mov_b32 s38, 0xbf559e2b
	s_load_dwordx2 s[18:19], s[0:1], 0x0
	s_mov_b32 s39, 0x3fc3ab76
	s_mov_b32 s43, 0x3fcc71c0
	;; [unrolled: 1-line block ×4, first 2 shown]
	s_load_dwordx8 s[8:15], s[4:5], 0x90
	s_mul_i32 s2, s35, s2
	s_waitcnt lgkmcnt(0)
	s_add_u32 s14, s22, s54
	s_addc_u32 s15, s23, s55
	s_lshl_b32 s4, s2, 2
	v_cmp_eq_u32_e64 s0, 0, v0
	s_ashr_i32 s5, s4, 31
	v_cmp_ne_u32_e64 s1, 0, v0
	s_lshl_b64 s[22:23], s[4:5], 3
	v_frexp_mant_f64_e32 v[1:2], s[18:19]
	v_cmp_class_f64_e64 s7, s[18:19], 0x204
	s_add_u32 s76, s8, s22
	s_addc_u32 s77, s9, s23
	s_lshl_b64 s[4:5], s[4:5], 2
	s_add_u32 s78, s10, s4
	s_addc_u32 s79, s11, s5
	s_ashr_i32 s3, s2, 31
	s_lshl_b64 s[4:5], s[2:3], 2
	v_cmp_lt_f64_e64 s2, s[24:25], 0
	s_add_u32 s80, s36, s4
	s_addc_u32 s81, s37, s5
	s_cmpk_lg_i32 s34, 0xe7
	s_cselect_b32 s34, -1, 0
	s_add_u32 s3, s56, s60
	s_addc_u32 s4, s57, s61
	v_cmp_gt_f64_e32 vcc_lo, s[20:21], v[1:2]
	s_add_u32 s3, s26, s3
	s_addc_u32 s4, s27, s4
	s_add_u32 s56, s3, 8
	s_addc_u32 s57, s4, 0
	;; [unrolled: 2-line block ×5, first 2 shown]
                                        ; implicit-def: $sgpr60
                                        ; implicit-def: $sgpr61
                                        ; implicit-def: $sgpr62
                                        ; implicit-def: $sgpr63
	v_cndmask_b32_e64 v3, 0, 1, vcc_lo
	v_ldexp_f64 v[1:2], v[1:2], v3
	v_add_f64 v[3:4], v[1:2], 1.0
	v_add_f64 v[9:10], v[1:2], -1.0
	v_rcp_f64_e32 v[5:6], v[3:4]
	v_add_f64 v[11:12], v[3:4], -1.0
	v_add_f64 v[1:2], v[1:2], -v[11:12]
	v_fma_f64 v[7:8], -v[3:4], v[5:6], 1.0
	v_fma_f64 v[5:6], v[7:8], v[5:6], v[5:6]
	v_fma_f64 v[7:8], -v[3:4], v[5:6], 1.0
	v_fma_f64 v[5:6], v[7:8], v[5:6], v[5:6]
	v_mul_f64 v[7:8], v[9:10], v[5:6]
	v_mul_f64 v[13:14], v[3:4], v[7:8]
	v_fma_f64 v[3:4], v[7:8], v[3:4], -v[13:14]
	v_fma_f64 v[1:2], v[7:8], v[1:2], v[3:4]
	v_add_f64 v[3:4], v[13:14], v[1:2]
	v_add_f64 v[11:12], v[9:10], -v[3:4]
	v_add_f64 v[13:14], v[3:4], -v[13:14]
	;; [unrolled: 1-line block ×4, first 2 shown]
	v_frexp_exp_i32_f64_e32 v13, s[18:19]
	v_add_f64 v[3:4], v[9:10], -v[3:4]
	v_add_f64 v[1:2], v[1:2], v[3:4]
	v_add_f64 v[1:2], v[11:12], v[1:2]
	v_mul_f64 v[1:2], v[5:6], v[1:2]
	v_add_f64 v[3:4], v[7:8], v[1:2]
	v_mul_f64 v[5:6], v[3:4], v[3:4]
	v_fma_f64 v[9:10], v[5:6], s[38:39], s[28:29]
	v_mul_f64 v[11:12], v[3:4], v[5:6]
	v_fma_f64 v[9:10], v[5:6], v[9:10], s[40:41]
	v_fma_f64 v[9:10], v[5:6], v[9:10], s[42:43]
	;; [unrolled: 1-line block ×5, first 2 shown]
	v_ldexp_f64 v[9:10], v[3:4], 1
	v_add_f64 v[3:4], v[3:4], -v[7:8]
	v_mul_f64 v[5:6], v[11:12], v[5:6]
	v_subrev_co_ci_u32_e64 v11, null, 0, v13, vcc_lo
	v_add_f64 v[1:2], v[1:2], -v[3:4]
	v_cmp_nlt_f64_e64 vcc_lo, s[18:19], 0
	v_cvt_f64_i32_e32 v[11:12], v11
	v_add_f64 v[7:8], v[9:10], v[5:6]
	v_ldexp_f64 v[1:2], v[1:2], 1
	v_mul_f64 v[13:14], v[11:12], s[50:51]
	v_add_f64 v[3:4], v[7:8], -v[9:10]
	v_fma_f64 v[9:10], v[11:12], s[50:51], -v[13:14]
	v_add_f64 v[3:4], v[5:6], -v[3:4]
	v_fma_f64 v[5:6], v[11:12], s[52:53], v[9:10]
	v_add_f64 v[1:2], v[1:2], v[3:4]
	v_add_f64 v[3:4], v[13:14], v[5:6]
	;; [unrolled: 1-line block ×3, first 2 shown]
	v_add_f64 v[13:14], v[3:4], -v[13:14]
	v_add_f64 v[11:12], v[3:4], v[9:10]
	v_add_f64 v[7:8], v[9:10], -v[7:8]
	v_add_f64 v[5:6], v[5:6], -v[13:14]
	;; [unrolled: 1-line block ×6, first 2 shown]
	v_add_f64 v[9:10], v[5:6], v[1:2]
	v_add_f64 v[3:4], v[3:4], -v[17:18]
	v_add_f64 v[3:4], v[7:8], v[3:4]
	v_add_f64 v[7:8], v[9:10], -v[5:6]
	;; [unrolled: 2-line block ×3, first 2 shown]
	v_add_f64 v[1:2], v[1:2], -v[7:8]
	v_add_f64 v[13:14], v[11:12], v[3:4]
	v_add_f64 v[5:6], v[5:6], -v[9:10]
	v_add_f64 v[7:8], v[13:14], -v[11:12]
	v_add_f64 v[1:2], v[1:2], v[5:6]
	v_add_f64 v[3:4], v[3:4], -v[7:8]
	v_add_f64 v[1:2], v[1:2], v[3:4]
	v_add_f64 v[1:2], v[13:14], v[1:2]
	;; [unrolled: 1-line block ×3, first 2 shown]
	v_cndmask_b32_e64 v2, v2, s19, s7
	v_cndmask_b32_e64 v1, v1, s18, s7
	v_cndmask_b32_e32 v2, 0x7ff80000, v2, vcc_lo
	v_cmp_nle_f64_e64 vcc_lo, s[18:19], 0
	v_cndmask_b32_e32 v15, 0, v1, vcc_lo
	v_cmp_neq_f64_e64 vcc_lo, s[18:19], 0
	v_cndmask_b32_e32 v16, 0xfff00000, v2, vcc_lo
	s_branch .LBB17_4
.LBB17_2:                               ;   in Loop: Header=BB17_4 Depth=1
	s_or_b32 exec_lo, exec_lo, s3
	v_mov_b32_e32 v4, v24
	s_mov_b32 s49, s63
	s_mov_b32 s7, s62
	;; [unrolled: 1-line block ×4, first 2 shown]
.LBB17_3:                               ;   in Loop: Header=BB17_4 Depth=1
	v_mov_b32_e32 v24, v4
	s_add_i32 s6, s6, 64
	s_mov_b32 s60, s9
	s_cmp_lt_i32 s6, s33
	s_mov_b32 s61, s54
	s_mov_b32 s62, s7
	;; [unrolled: 1-line block ×3, first 2 shown]
	s_waitcnt vmcnt(0)
	s_waitcnt_vscnt null, 0x0
	s_barrier
	buffer_gl0_inv
	s_cbranch_scc0 .LBB17_85
.LBB17_4:                               ; =>This Loop Header: Depth=1
                                        ;     Child Loop BB17_9 Depth 2
                                        ;     Child Loop BB17_20 Depth 2
	;; [unrolled: 1-line block ×4, first 2 shown]
                                        ;       Child Loop BB17_37 Depth 3
                                        ;         Child Loop BB17_40 Depth 4
                                        ;         Child Loop BB17_53 Depth 4
                                        ;     Child Loop BB17_69 Depth 2
                                        ;       Child Loop BB17_71 Depth 3
	s_ashr_i32 s7, s6, 31
	s_cmp_eq_u32 s6, 0
	s_mov_b32 s8, 0
	s_cbranch_scc1 .LBB17_6
; %bb.5:                                ;   in Loop: Header=BB17_4 Depth=1
	s_lshl_b64 s[4:5], s[6:7], 2
	s_add_u32 s4, s72, s4
	s_addc_u32 s5, s73, s5
	global_load_dword v1, v22, s[4:5] offset:-4
	s_waitcnt vmcnt(0)
	v_readfirstlane_b32 s8, v1
.LBB17_6:                               ;   in Loop: Header=BB17_4 Depth=1
	s_lshl_b64 s[10:11], s[6:7], 2
	s_add_u32 s4, s72, s10
	s_addc_u32 s5, s73, s11
	global_load_dword v1, v22, s[4:5]
	s_waitcnt vmcnt(0)
	v_readfirstlane_b32 s82, v1
	s_sub_i32 s26, s82, s8
	s_cmp_lg_u32 s26, 1
	s_cbranch_scc0 .LBB17_63
; %bb.7:                                ;   in Loop: Header=BB17_4 Depth=1
	s_ashr_i32 s9, s8, 31
	s_lshl_b64 s[4:5], s[8:9], 3
	s_add_u32 s22, s64, s4
	s_addc_u32 s23, s65, s5
	s_add_u32 s30, s66, s4
	s_addc_u32 s31, s67, s5
	s_clause 0x1
	global_load_dwordx2 v[9:10], v22, s[22:23]
	global_load_dwordx2 v[5:6], v22, s[30:31]
	s_cmp_lt_i32 s26, 3
	s_waitcnt vmcnt(0)
	v_add_f64 v[1:2], v[9:10], -|v[5:6]|
	v_add_f64 v[3:4], v[9:10], |v[5:6]|
	v_and_b32_e32 v6, 0x7fffffff, v6
	s_cbranch_scc1 .LBB17_10
; %bb.8:                                ;   in Loop: Header=BB17_4 Depth=1
	s_add_i32 s7, s26, -2
	s_add_u32 s30, s56, s4
	s_addc_u32 s31, s57, s5
	s_add_u32 s36, s58, s4
	s_addc_u32 s37, s59, s5
	.p2align	6
.LBB17_9:                               ;   Parent Loop BB17_4 Depth=1
                                        ; =>  This Inner Loop Header: Depth=2
	s_clause 0x1
	global_load_dwordx2 v[7:8], v22, s[30:31]
	global_load_dwordx2 v[11:12], v22, s[36:37]
	s_add_i32 s7, s7, -1
	s_add_u32 s30, s30, 8
	s_addc_u32 s31, s31, 0
	s_add_u32 s36, s36, 8
	s_addc_u32 s37, s37, 0
	s_cmp_lg_u32 s7, 0
	s_waitcnt vmcnt(1)
	v_add_f64 v[17:18], v[7:8], -v[5:6]
	v_add_f64 v[5:6], v[5:6], v[7:8]
	s_waitcnt vmcnt(0)
	v_add_f64 v[7:8], v[17:18], -|v[11:12]|
	v_add_f64 v[17:18], v[5:6], |v[11:12]|
	v_and_b32_e32 v6, 0x7fffffff, v12
	v_mov_b32_e32 v5, v11
	v_cmp_lt_f64_e32 vcc_lo, v[7:8], v[1:2]
	v_cmp_lt_f64_e64 s3, v[3:4], v[17:18]
	v_cndmask_b32_e32 v2, v2, v8, vcc_lo
	v_cndmask_b32_e64 v4, v4, v18, s3
	v_cndmask_b32_e32 v1, v1, v7, vcc_lo
	v_cndmask_b32_e64 v3, v3, v17, s3
	s_cbranch_scc1 .LBB17_9
.LBB17_10:                              ;   in Loop: Header=BB17_4 Depth=1
	s_ashr_i32 s27, s26, 31
	s_lshl_b64 s[30:31], s[26:27], 3
	s_add_u32 s30, s22, s30
	s_addc_u32 s31, s23, s31
	global_load_dwordx2 v[7:8], v22, s[30:31] offset:-8
	s_waitcnt vmcnt(0)
	v_add_f64 v[11:12], v[7:8], -v[5:6]
	v_add_f64 v[5:6], v[5:6], v[7:8]
	v_cmp_lt_f64_e32 vcc_lo, v[11:12], v[1:2]
	v_cmp_lt_f64_e64 s3, v[3:4], v[5:6]
	v_cndmask_b32_e32 v7, v2, v12, vcc_lo
	v_cndmask_b32_e64 v4, v4, v6, s3
	v_cndmask_b32_e32 v6, v1, v11, vcc_lo
	v_cndmask_b32_e64 v3, v3, v5, s3
	v_cvt_f64_i32_e32 v[11:12], s26
	v_cmp_lt_f64_e64 vcc_lo, |v[6:7]|, |v[3:4]|
	v_cndmask_b32_e32 v2, v7, v4, vcc_lo
	v_cndmask_b32_e32 v1, v6, v3, vcc_lo
	s_andn2_b32 vcc_lo, exec_lo, s34
	v_mul_f64 v[1:2], s[12:13], |v[1:2]|
	v_fma_f64 v[5:6], -v[1:2], v[11:12], v[6:7]
	v_fma_f64 v[3:4], v[1:2], v[11:12], v[3:4]
	v_add_f64 v[5:6], v[5:6], -s[18:19]
	v_add_f64 v[7:8], s[18:19], v[3:4]
	s_cbranch_vccnz .LBB17_12
; %bb.11:                               ;   in Loop: Header=BB17_4 Depth=1
	global_load_dwordx4 v[25:28], v22, s[16:17]
	s_waitcnt vmcnt(0)
	v_cmp_lt_f64_e32 vcc_lo, v[5:6], v[25:26]
	v_cmp_lt_f64_e64 s3, v[27:28], v[7:8]
	v_cndmask_b32_e32 v6, v6, v26, vcc_lo
	v_cndmask_b32_e64 v8, v8, v28, s3
	v_cndmask_b32_e32 v5, v5, v25, vcc_lo
	v_cndmask_b32_e64 v7, v7, v27, s3
.LBB17_12:                              ;   in Loop: Header=BB17_4 Depth=1
	v_cmp_nlt_f64_e32 vcc_lo, v[5:6], v[7:8]
	s_mov_b32 s3, -1
	s_cbranch_vccz .LBB17_16
; %bb.13:                               ;   in Loop: Header=BB17_4 Depth=1
	s_and_saveexec_b32 s3, s0
	s_cbranch_execz .LBB17_15
; %bb.14:                               ;   in Loop: Header=BB17_4 Depth=1
	s_add_u32 s30, s80, s10
	s_addc_u32 s31, s81, s11
	ds_write_b16 v22, v22 offset:6660
	global_store_dword v22, v22, s[30:31]
.LBB17_15:                              ;   in Loop: Header=BB17_4 Depth=1
	s_or_b32 exec_lo, exec_lo, s3
	s_mov_b32 s3, 0
.LBB17_16:                              ;   in Loop: Header=BB17_4 Depth=1
	v_mov_b32_e32 v4, v24
	s_mov_b32 s49, s63
	s_andn2_b32 vcc_lo, exec_lo, s3
	s_mov_b32 s7, s62
	s_mov_b32 s9, s60
	s_cbranch_vccnz .LBB17_29
; %bb.17:                               ;   in Loop: Header=BB17_4 Depth=1
	v_add_f64 v[3:4], v[7:8], -v[5:6]
	s_mov_b32 s49, s21
	v_add_f64 v[3:4], s[18:19], v[3:4]
	v_frexp_mant_f64_e32 v[11:12], v[3:4]
	v_cmp_gt_f64_e32 vcc_lo, s[20:21], v[11:12]
	v_cndmask_b32_e64 v17, 0, 1, vcc_lo
	v_ldexp_f64 v[11:12], v[11:12], v17
	v_add_f64 v[17:18], v[11:12], 1.0
	v_add_f64 v[29:30], v[11:12], -1.0
	v_rcp_f64_e32 v[25:26], v[17:18]
	v_add_f64 v[31:32], v[17:18], -1.0
	v_add_f64 v[11:12], v[11:12], -v[31:32]
	v_fma_f64 v[27:28], -v[17:18], v[25:26], 1.0
	v_fma_f64 v[25:26], v[27:28], v[25:26], v[25:26]
	v_fma_f64 v[27:28], -v[17:18], v[25:26], 1.0
	v_fma_f64 v[25:26], v[27:28], v[25:26], v[25:26]
	v_mul_f64 v[27:28], v[29:30], v[25:26]
	v_mul_f64 v[33:34], v[17:18], v[27:28]
	v_fma_f64 v[17:18], v[27:28], v[17:18], -v[33:34]
	v_fma_f64 v[11:12], v[27:28], v[11:12], v[17:18]
	v_add_f64 v[17:18], v[33:34], v[11:12]
	v_add_f64 v[31:32], v[29:30], -v[17:18]
	v_add_f64 v[33:34], v[17:18], -v[33:34]
	v_add_f64 v[29:30], v[29:30], -v[31:32]
	v_add_f64 v[11:12], v[33:34], -v[11:12]
	v_frexp_exp_i32_f64_e32 v33, v[3:4]
	v_add_f64 v[17:18], v[29:30], -v[17:18]
	v_add_f64 v[11:12], v[11:12], v[17:18]
	v_add_f64 v[11:12], v[31:32], v[11:12]
	v_mul_f64 v[11:12], v[25:26], v[11:12]
	v_add_f64 v[17:18], v[27:28], v[11:12]
	v_mul_f64 v[25:26], v[17:18], v[17:18]
	v_fma_f64 v[29:30], v[25:26], s[38:39], s[28:29]
	v_mul_f64 v[31:32], v[17:18], v[25:26]
	v_fma_f64 v[29:30], v[25:26], v[29:30], s[40:41]
	v_fma_f64 v[29:30], v[25:26], v[29:30], s[42:43]
	;; [unrolled: 1-line block ×5, first 2 shown]
	v_ldexp_f64 v[29:30], v[17:18], 1
	v_add_f64 v[17:18], v[17:18], -v[27:28]
	v_mul_f64 v[25:26], v[31:32], v[25:26]
	v_subrev_co_ci_u32_e64 v31, null, 0, v33, vcc_lo
	v_add_f64 v[11:12], v[11:12], -v[17:18]
	v_cmp_class_f64_e64 vcc_lo, v[3:4], 0x204
	v_cvt_f64_i32_e32 v[31:32], v31
	v_add_f64 v[27:28], v[29:30], v[25:26]
	v_ldexp_f64 v[11:12], v[11:12], 1
	v_mul_f64 v[33:34], v[31:32], s[50:51]
	v_add_f64 v[17:18], v[27:28], -v[29:30]
	v_fma_f64 v[29:30], v[31:32], s[50:51], -v[33:34]
	v_add_f64 v[17:18], v[25:26], -v[17:18]
	v_fma_f64 v[25:26], v[31:32], s[52:53], v[29:30]
	v_add_f64 v[11:12], v[11:12], v[17:18]
	v_add_f64 v[17:18], v[33:34], v[25:26]
	;; [unrolled: 1-line block ×3, first 2 shown]
	v_add_f64 v[33:34], v[17:18], -v[33:34]
	v_add_f64 v[31:32], v[17:18], v[29:30]
	v_add_f64 v[27:28], v[29:30], -v[27:28]
	v_add_f64 v[25:26], v[25:26], -v[33:34]
	;; [unrolled: 1-line block ×6, first 2 shown]
	v_add_f64 v[29:30], v[25:26], v[11:12]
	v_add_f64 v[17:18], v[17:18], -v[37:38]
	v_add_f64 v[17:18], v[27:28], v[17:18]
	v_add_f64 v[27:28], v[29:30], -v[25:26]
	;; [unrolled: 2-line block ×3, first 2 shown]
	v_add_f64 v[11:12], v[11:12], -v[27:28]
	v_add_f64 v[33:34], v[31:32], v[17:18]
	v_add_f64 v[25:26], v[25:26], -v[29:30]
	v_add_f64 v[27:28], v[33:34], -v[31:32]
	v_add_f64 v[11:12], v[11:12], v[25:26]
	v_add_f64 v[17:18], v[17:18], -v[27:28]
	v_add_f64 v[11:12], v[11:12], v[17:18]
	v_add_f64 v[11:12], v[33:34], v[11:12]
	v_cndmask_b32_e32 v11, v11, v3, vcc_lo
	v_cndmask_b32_e32 v12, v12, v4, vcc_lo
	v_cmp_ngt_f64_e32 vcc_lo, 0, v[3:4]
	v_cndmask_b32_e32 v12, 0x7ff80000, v12, vcc_lo
	v_cmp_nge_f64_e32 vcc_lo, 0, v[3:4]
	v_cndmask_b32_e32 v11, 0, v11, vcc_lo
	v_cmp_neq_f64_e32 vcc_lo, 0, v[3:4]
	v_cndmask_b32_e32 v12, 0xfff00000, v12, vcc_lo
	v_add_f64 v[3:4], v[11:12], -v[15:16]
	v_div_scale_f64 v[11:12], null, s[50:51], s[50:51], v[3:4]
	v_div_scale_f64 v[27:28], vcc_lo, v[3:4], s[50:51], v[3:4]
	v_rcp_f64_e32 v[17:18], v[11:12]
	v_fma_f64 v[25:26], -v[11:12], v[17:18], 1.0
	v_fma_f64 v[17:18], v[17:18], v[25:26], v[17:18]
	v_fma_f64 v[25:26], -v[11:12], v[17:18], 1.0
	v_fma_f64 v[17:18], v[17:18], v[25:26], v[17:18]
	v_mul_f64 v[25:26], v[27:28], v[17:18]
	v_fma_f64 v[11:12], -v[11:12], v[25:26], v[27:28]
	v_div_fmas_f64 v[11:12], v[11:12], v[17:18], v[25:26]
	v_div_fixup_f64 v[3:4], v[11:12], s[50:51], v[3:4]
	v_cvt_i32_f64_e32 v3, v[3:4]
	v_mov_b32_e32 v4, v24
	v_readfirstlane_b32 s7, v3
	s_and_saveexec_b32 s9, s0
	s_cbranch_execz .LBB17_28
; %bb.18:                               ;   in Loop: Header=BB17_4 Depth=1
	v_add_f64 v[11:12], v[9:10], -v[5:6]
	s_add_u32 s30, s74, s4
	s_addc_u32 s31, s75, s5
	s_cmp_gt_i32 s26, 1
	ds_write_b8 v22, v22 offset:6661
	s_cselect_b32 s27, -1, 0
	s_cmp_lt_i32 s26, 2
	v_cmp_ge_f64_e32 vcc_lo, s[18:19], v[11:12]
	v_cndmask_b32_e64 v3, 0, 1, vcc_lo
	s_cbranch_scc1 .LBB17_21
; %bb.19:                               ;   in Loop: Header=BB17_4 Depth=1
	v_cmp_gt_f64_e64 s36, v[11:12], -s[18:19]
	s_xor_b32 s3, s19, 0x80000000
	s_not_b32 s37, s8
	s_mov_b64 s[54:55], s[30:31]
	s_add_i32 s49, s37, s82
	s_and_b32 s36, vcc_lo, s36
	v_cndmask_b32_e64 v12, v12, s3, s36
	v_cndmask_b32_e64 v11, v11, s18, s36
	s_add_u32 s36, s56, s4
	s_addc_u32 s37, s57, s5
	s_inst_prefetch 0x1
	.p2align	6
.LBB17_20:                              ;   Parent Loop BB17_4 Depth=1
                                        ; =>  This Inner Loop Header: Depth=2
	s_clause 0x1
	global_load_dwordx2 v[17:18], v22, s[54:55]
	global_load_dwordx2 v[25:26], v22, s[36:37]
	s_add_i32 s49, s49, -1
	s_waitcnt vmcnt(1)
	v_div_scale_f64 v[27:28], null, v[11:12], v[11:12], v[17:18]
	v_div_scale_f64 v[33:34], vcc_lo, v[17:18], v[11:12], v[17:18]
	s_waitcnt vmcnt(0)
	v_add_f64 v[25:26], v[25:26], -v[5:6]
	v_rcp_f64_e32 v[29:30], v[27:28]
	v_fma_f64 v[31:32], -v[27:28], v[29:30], 1.0
	v_fma_f64 v[29:30], v[29:30], v[31:32], v[29:30]
	v_fma_f64 v[31:32], -v[27:28], v[29:30], 1.0
	v_fma_f64 v[29:30], v[29:30], v[31:32], v[29:30]
	v_mul_f64 v[31:32], v[33:34], v[29:30]
	v_fma_f64 v[27:28], -v[27:28], v[31:32], v[33:34]
	v_div_fmas_f64 v[27:28], v[27:28], v[29:30], v[31:32]
	v_div_fixup_f64 v[11:12], v[27:28], v[11:12], v[17:18]
	v_add_f64 v[11:12], v[25:26], -v[11:12]
	v_cmp_ge_f64_e32 vcc_lo, s[18:19], v[11:12]
	v_cmp_gt_f64_e64 s83, v[11:12], -s[18:19]
	v_add_co_ci_u32_e64 v3, null, 0, v3, vcc_lo
	s_and_b32 s83, vcc_lo, s83
	s_add_u32 s36, s36, 8
	v_cndmask_b32_e64 v12, v12, s3, s83
	v_cndmask_b32_e64 v11, v11, s18, s83
	s_addc_u32 s37, s37, 0
	s_add_u32 s54, s54, 8
	s_addc_u32 s55, s55, 0
	s_cmp_lg_u32 s49, 0
	s_cbranch_scc1 .LBB17_20
.LBB17_21:                              ;   in Loop: Header=BB17_4 Depth=1
	s_inst_prefetch 0x2
	v_add_f64 v[9:10], v[9:10], -v[7:8]
	s_andn2_b32 vcc_lo, exec_lo, s27
	v_cmp_ge_f64_e64 s3, s[18:19], v[9:10]
	v_cndmask_b32_e64 v4, 0, 1, s3
	s_cbranch_vccnz .LBB17_24
; %bb.22:                               ;   in Loop: Header=BB17_4 Depth=1
	v_cmp_gt_f64_e64 s36, v[9:10], -s[18:19]
	s_xor_b32 s27, s19, 0x80000000
	s_and_b32 s3, s3, s36
	s_not_b32 s36, s8
	v_cndmask_b32_e64 v10, v10, s27, s3
	v_cndmask_b32_e64 v9, v9, s18, s3
	s_add_i32 s3, s36, s82
	s_add_u32 s36, s56, s4
	s_addc_u32 s37, s57, s5
	s_inst_prefetch 0x1
	.p2align	6
.LBB17_23:                              ;   Parent Loop BB17_4 Depth=1
                                        ; =>  This Inner Loop Header: Depth=2
	s_clause 0x1
	global_load_dwordx2 v[11:12], v22, s[30:31]
	global_load_dwordx2 v[17:18], v22, s[36:37]
	s_add_i32 s3, s3, -1
	s_waitcnt vmcnt(1)
	v_div_scale_f64 v[25:26], null, v[9:10], v[9:10], v[11:12]
	v_div_scale_f64 v[31:32], vcc_lo, v[11:12], v[9:10], v[11:12]
	s_waitcnt vmcnt(0)
	v_add_f64 v[17:18], v[17:18], -v[7:8]
	v_rcp_f64_e32 v[27:28], v[25:26]
	v_fma_f64 v[29:30], -v[25:26], v[27:28], 1.0
	v_fma_f64 v[27:28], v[27:28], v[29:30], v[27:28]
	v_fma_f64 v[29:30], -v[25:26], v[27:28], 1.0
	v_fma_f64 v[27:28], v[27:28], v[29:30], v[27:28]
	v_mul_f64 v[29:30], v[31:32], v[27:28]
	v_fma_f64 v[25:26], -v[25:26], v[29:30], v[31:32]
	v_div_fmas_f64 v[25:26], v[25:26], v[27:28], v[29:30]
	v_div_fixup_f64 v[9:10], v[25:26], v[9:10], v[11:12]
	v_add_f64 v[9:10], v[17:18], -v[9:10]
	v_cmp_ge_f64_e32 vcc_lo, s[18:19], v[9:10]
	v_cmp_gt_f64_e64 s49, v[9:10], -s[18:19]
	v_add_co_ci_u32_e64 v4, null, 0, v4, vcc_lo
	s_and_b32 s49, vcc_lo, s49
	s_add_u32 s36, s36, 8
	v_cndmask_b32_e64 v10, v10, s27, s49
	v_cndmask_b32_e64 v9, v9, s18, s49
	s_addc_u32 s37, s37, 0
	s_add_u32 s30, s30, 8
	s_addc_u32 s31, s31, 0
	s_cmp_lg_u32 s3, 0
	s_cbranch_scc1 .LBB17_23
.LBB17_24:                              ;   in Loop: Header=BB17_4 Depth=1
	s_inst_prefetch 0x2
	v_sub_nc_u32_e32 v9, v4, v3
	s_mov_b32 s3, -1
	v_cmp_gt_i32_e32 vcc_lo, 1, v9
	s_cbranch_vccz .LBB17_26
; %bb.25:                               ;   in Loop: Header=BB17_4 Depth=1
	s_add_u32 s30, s80, s10
	s_addc_u32 s31, s81, s11
	ds_write_b8 v22, v22 offset:6660
	s_mov_b32 s3, 0
	global_store_dword v22, v22, s[30:31]
.LBB17_26:                              ;   in Loop: Header=BB17_4 Depth=1
	s_andn2_b32 vcc_lo, exec_lo, s3
	s_cbranch_vccnz .LBB17_28
; %bb.27:                               ;   in Loop: Header=BB17_4 Depth=1
	s_add_i32 s3, s8, s35
	ds_write_b8 v22, v23 offset:6660
	s_lshl_b32 s30, s3, 1
	s_ashr_i32 s31, s30, 31
	s_lshl_b64 s[36:37], s[30:31], 3
	s_add_u32 s36, s76, s36
	s_addc_u32 s37, s77, s37
	s_add_u32 s54, s80, s10
	s_addc_u32 s55, s81, s11
	s_lshl_b64 s[30:31], s[30:31], 2
	global_store_dwordx4 v22, v[5:8], s[36:37]
	s_add_u32 s30, s78, s30
	s_addc_u32 s31, s79, s31
	global_store_dword v22, v9, s[54:55]
	global_store_dwordx2 v22, v[3:4], s[30:31]
.LBB17_28:                              ;   in Loop: Header=BB17_4 Depth=1
	s_or_b32 exec_lo, exec_lo, s9
	s_add_i32 s7, s7, 2
	s_mov_b32 s9, 0
	s_mov_b32 s49, 1
.LBB17_29:                              ;   in Loop: Header=BB17_4 Depth=1
	s_waitcnt lgkmcnt(0)
	s_waitcnt_vscnt null, 0x0
	s_barrier
	buffer_gl0_inv
	ds_read_u16 v3, v22 offset:6660
	s_waitcnt lgkmcnt(0)
	v_readfirstlane_b32 s3, v3
	s_bitcmp1_b32 s3, 0
	s_cselect_b32 s36, -1, 0
	s_bitcmp1_b32 s3, 8
	s_cselect_b32 s3, -1, 0
	s_xor_b32 s27, s3, -1
	s_and_b32 s27, s36, s27
	s_cmp_lt_i32 s9, s7
	s_cselect_b32 s30, -1, 0
	s_and_b32 s27, s27, s30
	s_andn2_b32 vcc_lo, exec_lo, s27
	s_cbranch_vccnz .LBB17_64
; %bb.30:                               ;   in Loop: Header=BB17_4 Depth=1
	v_cndmask_b32_e64 v2, s25, v2, s2
	v_cndmask_b32_e64 v1, s24, v1, s2
	s_add_i32 s3, s8, s35
	s_lshl_b32 s55, s8, 1
	s_lshl_b32 s83, s3, 1
	s_add_u32 s30, s74, s4
	v_cmp_gt_f64_e32 vcc_lo, s[18:19], v[1:2]
	s_addc_u32 s31, s75, s5
	s_cmp_gt_i32 s26, 1
	s_cselect_b32 s84, -1, 0
	s_not_b32 s3, s8
	s_add_i32 s82, s3, s82
	s_add_u32 s26, s56, s4
	s_addc_u32 s27, s57, s5
	v_cndmask_b32_e64 v18, v2, s19, vcc_lo
	v_cndmask_b32_e64 v17, v1, s18, vcc_lo
	s_branch .LBB17_32
.LBB17_31:                              ;   in Loop: Header=BB17_32 Depth=2
	s_or_b32 exec_lo, exec_lo, s3
	s_waitcnt lgkmcnt(0)
	s_barrier
	buffer_gl0_inv
	ds_read_u16 v1, v22 offset:6660
	s_add_i32 s9, s9, 1
	s_waitcnt lgkmcnt(0)
	v_readfirstlane_b32 s3, v1
	s_bitcmp1_b32 s3, 0
	s_cselect_b32 s36, -1, 0
	s_bitcmp1_b32 s3, 8
	s_cselect_b32 s3, -1, 0
	s_xor_b32 s4, s3, -1
	s_and_b32 s4, s36, s4
	s_cmp_lt_i32 s9, s7
	s_cselect_b32 s5, -1, 0
	s_and_b32 s4, s4, s5
	s_and_b32 vcc_lo, exec_lo, s4
	s_cbranch_vccz .LBB17_65
.LBB17_32:                              ;   Parent Loop BB17_4 Depth=1
                                        ; =>  This Loop Header: Depth=2
                                        ;       Child Loop BB17_37 Depth 3
                                        ;         Child Loop BB17_40 Depth 4
                                        ;         Child Loop BB17_53 Depth 4
	s_and_saveexec_b32 s3, s0
; %bb.33:                               ;   in Loop: Header=BB17_32 Depth=2
	ds_write_b32 v22, v22 offset:6656
; %bb.34:                               ;   in Loop: Header=BB17_32 Depth=2
	s_or_b32 exec_lo, exec_lo, s3
	s_bitcmp0_b32 s9, 0
	s_cselect_b32 s3, -1, 0
	s_and_b32 s4, s3, exec_lo
	s_cselect_b32 s54, s55, s83
	s_cmp_lt_i32 s49, 1
	s_cbranch_scc1 .LBB17_60
; %bb.35:                               ;   in Loop: Header=BB17_32 Depth=2
	s_and_b32 s3, s3, exec_lo
	s_cselect_b32 s85, s83, s55
	s_mov_b32 s86, 0
	s_branch .LBB17_37
.LBB17_36:                              ;   in Loop: Header=BB17_37 Depth=3
	s_or_b32 exec_lo, exec_lo, s4
	s_addk_i32 s86, 0x80
	s_waitcnt lgkmcnt(0)
	s_cmp_ge_i32 s86, s49
	s_barrier
	buffer_gl0_inv
	s_cbranch_scc1 .LBB17_60
.LBB17_37:                              ;   Parent Loop BB17_4 Depth=1
                                        ;     Parent Loop BB17_32 Depth=2
                                        ; =>    This Loop Header: Depth=3
                                        ;         Child Loop BB17_40 Depth 4
                                        ;         Child Loop BB17_53 Depth 4
	v_add_nc_u32_e32 v1, s86, v0
	v_cmp_gt_i32_e64 s3, s49, v1
	s_and_saveexec_b32 s87, s3
	s_cbranch_execz .LBB17_50
; %bb.38:                               ;   in Loop: Header=BB17_37 Depth=3
	v_lshl_add_u32 v1, v1, 1, s85
	v_ashrrev_i32_e32 v2, 31, v1
	v_lshlrev_b64 v[3:4], 3, v[1:2]
	v_lshlrev_b64 v[1:2], 2, v[1:2]
	v_add_co_u32 v3, vcc_lo, s76, v3
	v_add_co_ci_u32_e64 v4, null, s77, v4, vcc_lo
	v_add_co_u32 v1, vcc_lo, s78, v1
	v_add_co_ci_u32_e64 v2, null, s79, v2, vcc_lo
	global_load_dwordx4 v[5:8], v[3:4], off
	global_load_dwordx2 v[9:10], v22, s[22:23]
	s_andn2_b32 vcc_lo, exec_lo, s84
	global_load_dwordx2 v[3:4], v[1:2], off
	s_waitcnt vmcnt(2)
	v_add_f64 v[11:12], v[5:6], v[7:8]
	s_waitcnt vmcnt(1)
	v_fma_f64 v[1:2], v[11:12], -0.5, v[9:10]
	v_mul_f64 v[9:10], v[11:12], 0.5
	v_cmp_ge_f64_e64 s4, s[18:19], v[1:2]
	v_cndmask_b32_e64 v11, 0, 1, s4
	s_cbranch_vccnz .LBB17_41
; %bb.39:                               ;   in Loop: Header=BB17_37 Depth=3
	v_cmp_gt_f64_e64 s5, v[1:2], -s[18:19]
	s_xor_b32 s88, s19, 0x80000000
	s_mov_b64 s[36:37], s[26:27]
	s_mov_b32 s89, s82
	s_and_b32 s4, s4, s5
	v_cndmask_b32_e64 v2, v2, s88, s4
	v_cndmask_b32_e64 v1, v1, s18, s4
	s_mov_b64 s[4:5], s[30:31]
	s_inst_prefetch 0x1
	.p2align	6
.LBB17_40:                              ;   Parent Loop BB17_4 Depth=1
                                        ;     Parent Loop BB17_32 Depth=2
                                        ;       Parent Loop BB17_37 Depth=3
                                        ; =>      This Inner Loop Header: Depth=4
	s_clause 0x1
	global_load_dwordx2 v[25:26], v22, s[4:5]
	global_load_dwordx2 v[27:28], v22, s[36:37]
	s_add_i32 s89, s89, -1
	s_waitcnt vmcnt(1)
	v_div_scale_f64 v[29:30], null, v[1:2], v[1:2], v[25:26]
	v_div_scale_f64 v[35:36], vcc_lo, v[25:26], v[1:2], v[25:26]
	s_waitcnt vmcnt(0)
	v_add_f64 v[27:28], v[27:28], -v[9:10]
	v_rcp_f64_e32 v[31:32], v[29:30]
	v_fma_f64 v[33:34], -v[29:30], v[31:32], 1.0
	v_fma_f64 v[31:32], v[31:32], v[33:34], v[31:32]
	v_fma_f64 v[33:34], -v[29:30], v[31:32], 1.0
	v_fma_f64 v[31:32], v[31:32], v[33:34], v[31:32]
	v_mul_f64 v[33:34], v[35:36], v[31:32]
	v_fma_f64 v[29:30], -v[29:30], v[33:34], v[35:36]
	v_div_fmas_f64 v[29:30], v[29:30], v[31:32], v[33:34]
	v_div_fixup_f64 v[1:2], v[29:30], v[1:2], v[25:26]
	v_add_f64 v[1:2], v[27:28], -v[1:2]
	v_cmp_ge_f64_e32 vcc_lo, s[18:19], v[1:2]
	v_cmp_gt_f64_e64 s90, v[1:2], -s[18:19]
	v_add_co_ci_u32_e64 v11, null, 0, v11, vcc_lo
	s_and_b32 s90, vcc_lo, s90
	s_add_u32 s36, s36, 8
	v_cndmask_b32_e64 v2, v2, s88, s90
	v_cndmask_b32_e64 v1, v1, s18, s90
	s_addc_u32 s37, s37, 0
	s_add_u32 s4, s4, 8
	s_addc_u32 s5, s5, 0
	s_cmp_lg_u32 s89, 0
	s_cbranch_scc1 .LBB17_40
.LBB17_41:                              ;   in Loop: Header=BB17_37 Depth=3
	s_inst_prefetch 0x2
	s_waitcnt vmcnt(0)
	v_max_i32_e32 v1, v11, v3
	s_mov_b32 s4, exec_lo
	v_min_i32_e32 v2, v1, v4
	v_cmpx_ne_u32_e64 v2, v3
	s_xor_b32 s4, exec_lo, s4
	s_cbranch_execz .LBB17_47
; %bb.42:                               ;   in Loop: Header=BB17_37 Depth=3
	s_mov_b32 s5, exec_lo
	v_cmpx_le_i32_e64 v4, v1
	s_xor_b32 s5, exec_lo, s5
	s_cbranch_execz .LBB17_44
; %bb.43:                               ;   in Loop: Header=BB17_37 Depth=3
	v_mov_b32_e32 v7, v9
	v_mov_b32_e32 v8, v10
	;; [unrolled: 1-line block ×3, first 2 shown]
                                        ; implicit-def: $vgpr9_vgpr10
	ds_write_b32 v19, v22
	ds_write_b128 v20, v[5:8]
	ds_write_b64 v21, v[1:2]
                                        ; implicit-def: $vgpr5_vgpr6
.LBB17_44:                              ;   in Loop: Header=BB17_37 Depth=3
	s_andn2_saveexec_b32 s5, s5
	s_cbranch_execz .LBB17_46
; %bb.45:                               ;   in Loop: Header=BB17_37 Depth=3
	v_mov_b32_e32 v25, v5
	v_mov_b32_e32 v26, v6
	;; [unrolled: 1-line block ×8, first 2 shown]
	ds_write_b32 v19, v23
	ds_write_b128 v20, v[25:28]
	ds_write_b128 v20, v[9:12] offset:16
	ds_write_b128 v21, v[1:4]
.LBB17_46:                              ;   in Loop: Header=BB17_37 Depth=3
	s_or_b32 exec_lo, exec_lo, s5
                                        ; implicit-def: $vgpr9_vgpr10
                                        ; implicit-def: $vgpr7_vgpr8
.LBB17_47:                              ;   in Loop: Header=BB17_37 Depth=3
	s_andn2_saveexec_b32 s4, s4
	s_cbranch_execz .LBB17_49
; %bb.48:                               ;   in Loop: Header=BB17_37 Depth=3
	v_mov_b32_e32 v11, v7
	v_mov_b32_e32 v12, v8
	ds_write_b32 v19, v22
	ds_write_b128 v20, v[9:12]
	ds_write_b64 v21, v[3:4]
.LBB17_49:                              ;   in Loop: Header=BB17_37 Depth=3
	s_or_b32 exec_lo, exec_lo, s4
.LBB17_50:                              ;   in Loop: Header=BB17_37 Depth=3
	s_or_b32 exec_lo, exec_lo, s87
	s_waitcnt lgkmcnt(0)
	s_barrier
	buffer_gl0_inv
	s_and_saveexec_b32 s4, s3
	s_cbranch_execz .LBB17_58
; %bb.51:                               ;   in Loop: Header=BB17_37 Depth=3
	v_mov_b32_e32 v4, 0
	s_and_saveexec_b32 s3, s1
	s_cbranch_execz .LBB17_55
; %bb.52:                               ;   in Loop: Header=BB17_37 Depth=3
	v_mov_b32_e32 v4, 0
	v_mov_b32_e32 v1, v0
	s_movk_i32 s36, 0x1800
	s_mov_b32 s5, 0
.LBB17_53:                              ;   Parent Loop BB17_4 Depth=1
                                        ;     Parent Loop BB17_32 Depth=2
                                        ;       Parent Loop BB17_37 Depth=3
                                        ; =>      This Inner Loop Header: Depth=4
	v_mov_b32_e32 v2, s36
	v_add_nc_u32_e32 v1, -1, v1
	s_add_i32 s36, s36, 4
	ds_read_b32 v2, v2
	v_cmp_eq_u32_e32 vcc_lo, 0, v1
	s_or_b32 s5, vcc_lo, s5
	s_waitcnt lgkmcnt(0)
	v_add_nc_u32_e32 v4, v2, v4
	s_andn2_b32 exec_lo, exec_lo, s5
	s_cbranch_execnz .LBB17_53
; %bb.54:                               ;   in Loop: Header=BB17_37 Depth=3
	s_or_b32 exec_lo, exec_lo, s5
.LBB17_55:                              ;   in Loop: Header=BB17_37 Depth=3
	s_or_b32 exec_lo, exec_lo, s3
	ds_read_b32 v1, v22 offset:6656
	ds_read_b64 v[11:12], v21
	ds_read_b32 v3, v19
	ds_read_b128 v[7:10], v20
	s_mov_b32 s3, exec_lo
	s_waitcnt lgkmcnt(3)
	v_add3_u32 v1, v4, v0, v1
	v_lshl_add_u32 v1, v1, 1, s54
	v_ashrrev_i32_e32 v2, 31, v1
	v_lshlrev_b64 v[5:6], 3, v[1:2]
	v_lshlrev_b64 v[25:26], 2, v[1:2]
	v_add_co_u32 v1, vcc_lo, s76, v5
	v_add_co_ci_u32_e64 v2, null, s77, v6, vcc_lo
	v_add_co_u32 v5, vcc_lo, s78, v25
	v_add_co_ci_u32_e64 v6, null, s79, v26, vcc_lo
	s_waitcnt lgkmcnt(0)
	global_store_dwordx4 v[1:2], v[7:10], off
	global_store_dwordx2 v[5:6], v[11:12], off
	v_cmpx_ne_u32_e32 0, v3
	s_cbranch_execz .LBB17_57
; %bb.56:                               ;   in Loop: Header=BB17_37 Depth=3
	ds_read_b128 v[7:10], v20 offset:16
	ds_read_b64 v[11:12], v21 offset:8
	s_waitcnt lgkmcnt(1)
	global_store_dwordx4 v[1:2], v[7:10], off offset:16
	s_waitcnt lgkmcnt(0)
	global_store_dwordx2 v[5:6], v[11:12], off offset:8
.LBB17_57:                              ;   in Loop: Header=BB17_37 Depth=3
	s_or_b32 exec_lo, exec_lo, s3
.LBB17_58:                              ;   in Loop: Header=BB17_37 Depth=3
	s_or_b32 exec_lo, exec_lo, s4
	s_sub_i32 s3, s49, s86
	s_waitcnt_vscnt null, 0x0
	s_min_i32 s3, s3, 0x80
	s_barrier
	s_add_i32 s4, s3, -1
	buffer_gl0_inv
	v_cmp_eq_u32_e32 vcc_lo, s4, v0
	s_and_saveexec_b32 s4, vcc_lo
	s_cbranch_execz .LBB17_36
; %bb.59:                               ;   in Loop: Header=BB17_37 Depth=3
	ds_read_b32 v1, v19
	ds_read_b32 v2, v22 offset:6656
	v_add_nc_u32_e32 v3, s3, v4
	s_waitcnt lgkmcnt(0)
	v_add3_u32 v1, v3, v1, v2
	ds_write_b32 v22, v1 offset:6656
	s_branch .LBB17_36
.LBB17_60:                              ;   in Loop: Header=BB17_32 Depth=2
	ds_read_b32 v1, v22 offset:6656
	s_waitcnt lgkmcnt(0)
	v_readfirstlane_b32 s49, v1
	s_and_saveexec_b32 s3, s0
	s_cbranch_execz .LBB17_31
; %bb.61:                               ;   in Loop: Header=BB17_32 Depth=2
	ds_read_b128 v[5:8], v22
	s_waitcnt lgkmcnt(0)
	v_cmp_lt_f64_e64 vcc_lo, |v[5:6]|, |v[7:8]|
	v_cndmask_b32_e32 v2, v6, v8, vcc_lo
	v_cndmask_b32_e32 v1, v5, v7, vcc_lo
	v_add_f64 v[5:6], v[7:8], -v[5:6]
	v_mul_f64 v[1:2], v[13:14], |v[1:2]|
	v_cmp_lt_f64_e32 vcc_lo, v[17:18], v[1:2]
	v_cndmask_b32_e32 v2, v18, v2, vcc_lo
	v_cndmask_b32_e32 v1, v17, v1, vcc_lo
	v_cmp_nlt_f64_e32 vcc_lo, v[5:6], v[1:2]
	s_cbranch_vccnz .LBB17_31
; %bb.62:                               ;   in Loop: Header=BB17_32 Depth=2
	ds_write_b8 v22, v23 offset:6661
	s_branch .LBB17_31
.LBB17_63:                              ;   in Loop: Header=BB17_4 Depth=1
                                        ; implicit-def: $sgpr9
                                        ; implicit-def: $sgpr54
                                        ; implicit-def: $sgpr7
                                        ; implicit-def: $sgpr49
                                        ; implicit-def: $vgpr4
	s_cbranch_execz .LBB17_3
	s_branch .LBB17_77
.LBB17_64:                              ;   in Loop: Header=BB17_4 Depth=1
	s_mov_b32 s54, s61
.LBB17_65:                              ;   in Loop: Header=BB17_4 Depth=1
	s_and_b32 s4, s0, s36
	s_and_saveexec_b32 s26, s4
	s_cbranch_execz .LBB17_76
; %bb.66:                               ;   in Loop: Header=BB17_4 Depth=1
	s_cmp_lt_i32 s49, 1
	s_cbranch_scc1 .LBB17_74
; %bb.67:                               ;   in Loop: Header=BB17_4 Depth=1
	s_add_i32 s4, s6, 1
	s_not_b32 s5, s6
	s_and_b32 s22, s3, exec_lo
	s_cselect_b32 s27, s4, s5
	s_mov_b32 s30, 0
	s_mov_b32 s31, 0
	s_inst_prefetch 0x1
	s_branch .LBB17_69
	.p2align	6
.LBB17_68:                              ;   in Loop: Header=BB17_69 Depth=2
	s_add_i32 s30, s30, 1
	s_cmp_eq_u32 s30, s49
	s_cbranch_scc1 .LBB17_73
.LBB17_69:                              ;   Parent Loop BB17_4 Depth=1
                                        ; =>  This Loop Header: Depth=2
                                        ;       Child Loop BB17_71 Depth 3
	s_lshl_b32 s4, s30, 1
	s_add_i32 s4, s4, s54
	s_ashr_i32 s5, s4, 31
	s_lshl_b64 s[22:23], s[4:5], 2
	s_add_u32 s22, s78, s22
	s_addc_u32 s23, s79, s23
	global_load_dwordx2 v[1:2], v22, s[22:23]
	s_waitcnt vmcnt(0)
	v_readfirstlane_b32 s22, v1
	v_readfirstlane_b32 s36, v2
	s_sub_i32 s37, s36, s22
	s_cmp_lt_i32 s37, 1
	s_cbranch_scc1 .LBB17_68
; %bb.70:                               ;   in Loop: Header=BB17_69 Depth=2
	s_lshl_b64 s[4:5], s[4:5], 3
	s_mov_b32 s55, 0
	s_add_u32 s4, s76, s4
	s_addc_u32 s5, s77, s5
	s_add_i32 s22, s8, s31
	global_load_dwordx4 v[1:4], v22, s[4:5]
	s_ashr_i32 s23, s22, 31
	s_lshl_b64 s[4:5], s[22:23], 3
	s_add_u32 s4, s68, s4
	s_addc_u32 s5, s69, s5
	s_lshl_b64 s[22:23], s[22:23], 2
	s_add_u32 s22, s70, s22
	s_addc_u32 s23, s71, s23
	s_waitcnt vmcnt(0)
	v_add_f64 v[1:2], v[1:2], v[3:4]
	v_mul_f64 v[1:2], v[1:2], 0.5
.LBB17_71:                              ;   Parent Loop BB17_4 Depth=1
                                        ;     Parent Loop BB17_69 Depth=2
                                        ; =>    This Inner Loop Header: Depth=3
	v_mov_b32_e32 v3, s27
	s_add_i32 s55, s55, 1
	global_store_dwordx2 v22, v[1:2], s[4:5]
	s_add_u32 s4, s4, 8
	s_addc_u32 s5, s5, 0
	global_store_dword v22, v3, s[22:23]
	s_add_u32 s22, s22, 4
	s_addc_u32 s23, s23, 0
	s_cmp_ge_i32 s55, s37
	s_cbranch_scc0 .LBB17_71
; %bb.72:                               ;   in Loop: Header=BB17_69 Depth=2
	s_add_i32 s31, s31, s55
	s_branch .LBB17_68
.LBB17_73:                              ;   in Loop: Header=BB17_4 Depth=1
	s_inst_prefetch 0x2
	v_mov_b32_e32 v4, s36
.LBB17_74:                              ;   in Loop: Header=BB17_4 Depth=1
	s_xor_b32 s3, s3, -1
	s_and_b32 vcc_lo, exec_lo, s3
	s_cbranch_vccz .LBB17_76
; %bb.75:                               ;   in Loop: Header=BB17_4 Depth=1
	global_store_dword v22, v23, s[14:15]
.LBB17_76:                              ;   in Loop: Header=BB17_4 Depth=1
	s_or_b32 exec_lo, exec_lo, s26
	s_branch .LBB17_3
.LBB17_77:                              ;   in Loop: Header=BB17_4 Depth=1
	s_and_saveexec_b32 s3, s0
	s_cbranch_execz .LBB17_2
; %bb.78:                               ;   in Loop: Header=BB17_4 Depth=1
	s_ashr_i32 s9, s8, 31
	s_mov_b32 s7, -1
	s_lshl_b64 s[4:5], s[8:9], 3
	s_add_u32 s22, s64, s4
	s_addc_u32 s23, s65, s5
	s_andn2_b32 vcc_lo, exec_lo, s34
	global_load_dwordx2 v[1:2], v22, s[22:23]
	s_cbranch_vccnz .LBB17_83
; %bb.79:                               ;   in Loop: Header=BB17_4 Depth=1
	global_load_dwordx2 v[5:6], v22, s[16:17]
	s_waitcnt vmcnt(1)
	v_add_f64 v[3:4], v[1:2], -s[18:19]
	s_mov_b32 s7, 0
	s_waitcnt vmcnt(0)
	v_cmp_lt_f64_e32 vcc_lo, v[5:6], v[3:4]
	v_cmp_nlt_f64_e64 s22, v[5:6], v[3:4]
	s_cbranch_vccz .LBB17_81
; %bb.80:                               ;   in Loop: Header=BB17_4 Depth=1
	global_load_dwordx2 v[5:6], v22, s[16:17] offset:8
	s_mov_b32 s7, -1
	s_waitcnt vmcnt(0)
	v_cmp_nge_f64_e64 s22, v[5:6], v[3:4]
.LBB17_81:                              ;   in Loop: Header=BB17_4 Depth=1
	s_andn2_b32 vcc_lo, exec_lo, s22
	s_cbranch_vccnz .LBB17_83
; %bb.82:                               ;   in Loop: Header=BB17_4 Depth=1
	s_add_u32 s22, s80, s10
	s_addc_u32 s23, s81, s11
	s_mov_b32 s7, 0
	global_store_dword v22, v22, s[22:23]
.LBB17_83:                              ;   in Loop: Header=BB17_4 Depth=1
	s_and_b32 vcc_lo, exec_lo, s7
	s_cbranch_vccz .LBB17_2
; %bb.84:                               ;   in Loop: Header=BB17_4 Depth=1
	s_add_u32 s4, s68, s4
	s_addc_u32 s5, s69, s5
	s_add_u32 s10, s80, s10
	s_addc_u32 s11, s81, s11
	s_add_i32 s7, s6, 1
	s_lshl_b64 s[8:9], s[8:9], 2
	v_mov_b32_e32 v3, s7
	s_waitcnt vmcnt(0)
	global_store_dwordx2 v22, v[1:2], s[4:5]
	s_add_u32 s4, s70, s8
	s_addc_u32 s5, s71, s9
	global_store_dword v22, v23, s[10:11]
	global_store_dword v22, v3, s[4:5]
	s_branch .LBB17_2
.LBB17_85:
	s_endpgm
	.section	.rodata,"a",@progbits
	.p2align	6, 0x0
	.amdhsa_kernel _ZN9rocsolver6v33100L22stebz_bisection_kernelIdPdEEv15rocblas_erange_iT_T0_iiS5_iiPiPS4_lS6_lS6_lS6_S6_S7_S7_S7_S7_S6_S4_S4_
		.amdhsa_group_segment_fixed_size 6664
		.amdhsa_private_segment_fixed_size 0
		.amdhsa_kernarg_size 176
		.amdhsa_user_sgpr_count 6
		.amdhsa_user_sgpr_private_segment_buffer 1
		.amdhsa_user_sgpr_dispatch_ptr 0
		.amdhsa_user_sgpr_queue_ptr 0
		.amdhsa_user_sgpr_kernarg_segment_ptr 1
		.amdhsa_user_sgpr_dispatch_id 0
		.amdhsa_user_sgpr_flat_scratch_init 0
		.amdhsa_user_sgpr_private_segment_size 0
		.amdhsa_wavefront_size32 1
		.amdhsa_uses_dynamic_stack 0
		.amdhsa_system_sgpr_private_segment_wavefront_offset 0
		.amdhsa_system_sgpr_workgroup_id_x 1
		.amdhsa_system_sgpr_workgroup_id_y 1
		.amdhsa_system_sgpr_workgroup_id_z 0
		.amdhsa_system_sgpr_workgroup_info 0
		.amdhsa_system_vgpr_workitem_id 0
		.amdhsa_next_free_vgpr 39
		.amdhsa_next_free_sgpr 91
		.amdhsa_reserve_vcc 1
		.amdhsa_reserve_flat_scratch 0
		.amdhsa_float_round_mode_32 0
		.amdhsa_float_round_mode_16_64 0
		.amdhsa_float_denorm_mode_32 3
		.amdhsa_float_denorm_mode_16_64 3
		.amdhsa_dx10_clamp 1
		.amdhsa_ieee_mode 1
		.amdhsa_fp16_overflow 0
		.amdhsa_workgroup_processor_mode 1
		.amdhsa_memory_ordered 1
		.amdhsa_forward_progress 1
		.amdhsa_shared_vgpr_count 0
		.amdhsa_exception_fp_ieee_invalid_op 0
		.amdhsa_exception_fp_denorm_src 0
		.amdhsa_exception_fp_ieee_div_zero 0
		.amdhsa_exception_fp_ieee_overflow 0
		.amdhsa_exception_fp_ieee_underflow 0
		.amdhsa_exception_fp_ieee_inexact 0
		.amdhsa_exception_int_div_zero 0
	.end_amdhsa_kernel
	.section	.text._ZN9rocsolver6v33100L22stebz_bisection_kernelIdPdEEv15rocblas_erange_iT_T0_iiS5_iiPiPS4_lS6_lS6_lS6_S6_S7_S7_S7_S7_S6_S4_S4_,"axG",@progbits,_ZN9rocsolver6v33100L22stebz_bisection_kernelIdPdEEv15rocblas_erange_iT_T0_iiS5_iiPiPS4_lS6_lS6_lS6_S6_S7_S7_S7_S7_S6_S4_S4_,comdat
.Lfunc_end17:
	.size	_ZN9rocsolver6v33100L22stebz_bisection_kernelIdPdEEv15rocblas_erange_iT_T0_iiS5_iiPiPS4_lS6_lS6_lS6_S6_S7_S7_S7_S7_S6_S4_S4_, .Lfunc_end17-_ZN9rocsolver6v33100L22stebz_bisection_kernelIdPdEEv15rocblas_erange_iT_T0_iiS5_iiPiPS4_lS6_lS6_lS6_S6_S7_S7_S7_S7_S6_S4_S4_
                                        ; -- End function
	.set _ZN9rocsolver6v33100L22stebz_bisection_kernelIdPdEEv15rocblas_erange_iT_T0_iiS5_iiPiPS4_lS6_lS6_lS6_S6_S7_S7_S7_S7_S6_S4_S4_.num_vgpr, 39
	.set _ZN9rocsolver6v33100L22stebz_bisection_kernelIdPdEEv15rocblas_erange_iT_T0_iiS5_iiPiPS4_lS6_lS6_lS6_S6_S7_S7_S7_S7_S6_S4_S4_.num_agpr, 0
	.set _ZN9rocsolver6v33100L22stebz_bisection_kernelIdPdEEv15rocblas_erange_iT_T0_iiS5_iiPiPS4_lS6_lS6_lS6_S6_S7_S7_S7_S7_S6_S4_S4_.numbered_sgpr, 91
	.set _ZN9rocsolver6v33100L22stebz_bisection_kernelIdPdEEv15rocblas_erange_iT_T0_iiS5_iiPiPS4_lS6_lS6_lS6_S6_S7_S7_S7_S7_S6_S4_S4_.num_named_barrier, 0
	.set _ZN9rocsolver6v33100L22stebz_bisection_kernelIdPdEEv15rocblas_erange_iT_T0_iiS5_iiPiPS4_lS6_lS6_lS6_S6_S7_S7_S7_S7_S6_S4_S4_.private_seg_size, 0
	.set _ZN9rocsolver6v33100L22stebz_bisection_kernelIdPdEEv15rocblas_erange_iT_T0_iiS5_iiPiPS4_lS6_lS6_lS6_S6_S7_S7_S7_S7_S6_S4_S4_.uses_vcc, 1
	.set _ZN9rocsolver6v33100L22stebz_bisection_kernelIdPdEEv15rocblas_erange_iT_T0_iiS5_iiPiPS4_lS6_lS6_lS6_S6_S7_S7_S7_S7_S6_S4_S4_.uses_flat_scratch, 0
	.set _ZN9rocsolver6v33100L22stebz_bisection_kernelIdPdEEv15rocblas_erange_iT_T0_iiS5_iiPiPS4_lS6_lS6_lS6_S6_S7_S7_S7_S7_S6_S4_S4_.has_dyn_sized_stack, 0
	.set _ZN9rocsolver6v33100L22stebz_bisection_kernelIdPdEEv15rocblas_erange_iT_T0_iiS5_iiPiPS4_lS6_lS6_lS6_S6_S7_S7_S7_S7_S6_S4_S4_.has_recursion, 0
	.set _ZN9rocsolver6v33100L22stebz_bisection_kernelIdPdEEv15rocblas_erange_iT_T0_iiS5_iiPiPS4_lS6_lS6_lS6_S6_S7_S7_S7_S7_S6_S4_S4_.has_indirect_call, 0
	.section	.AMDGPU.csdata,"",@progbits
; Kernel info:
; codeLenInByte = 5576
; TotalNumSgprs: 93
; NumVgprs: 39
; ScratchSize: 0
; MemoryBound: 0
; FloatMode: 240
; IeeeMode: 1
; LDSByteSize: 6664 bytes/workgroup (compile time only)
; SGPRBlocks: 0
; VGPRBlocks: 4
; NumSGPRsForWavesPerEU: 93
; NumVGPRsForWavesPerEU: 39
; Occupancy: 16
; WaveLimiterHint : 1
; COMPUTE_PGM_RSRC2:SCRATCH_EN: 0
; COMPUTE_PGM_RSRC2:USER_SGPR: 6
; COMPUTE_PGM_RSRC2:TRAP_HANDLER: 0
; COMPUTE_PGM_RSRC2:TGID_X_EN: 1
; COMPUTE_PGM_RSRC2:TGID_Y_EN: 1
; COMPUTE_PGM_RSRC2:TGID_Z_EN: 0
; COMPUTE_PGM_RSRC2:TIDIG_COMP_CNT: 0
	.section	.text._ZN9rocsolver6v33100L22stebz_synthesis_kernelIdPdEEv15rocblas_erange_15rocblas_eorder_iiiT0_iiPiS6_PT_lS6_lS6_liS6_S8_S8_S8_S8_S6_S7_,"axG",@progbits,_ZN9rocsolver6v33100L22stebz_synthesis_kernelIdPdEEv15rocblas_erange_15rocblas_eorder_iiiT0_iiPiS6_PT_lS6_lS6_liS6_S8_S8_S8_S8_S6_S7_,comdat
	.globl	_ZN9rocsolver6v33100L22stebz_synthesis_kernelIdPdEEv15rocblas_erange_15rocblas_eorder_iiiT0_iiPiS6_PT_lS6_lS6_liS6_S8_S8_S8_S8_S6_S7_ ; -- Begin function _ZN9rocsolver6v33100L22stebz_synthesis_kernelIdPdEEv15rocblas_erange_15rocblas_eorder_iiiT0_iiPiS6_PT_lS6_lS6_liS6_S8_S8_S8_S8_S6_S7_
	.p2align	8
	.type	_ZN9rocsolver6v33100L22stebz_synthesis_kernelIdPdEEv15rocblas_erange_15rocblas_eorder_iiiT0_iiPiS6_PT_lS6_lS6_liS6_S8_S8_S8_S8_S6_S7_,@function
_ZN9rocsolver6v33100L22stebz_synthesis_kernelIdPdEEv15rocblas_erange_15rocblas_eorder_iiiT0_iiPiS6_PT_lS6_lS6_liS6_S8_S8_S8_S8_S6_S7_: ; @_ZN9rocsolver6v33100L22stebz_synthesis_kernelIdPdEEv15rocblas_erange_15rocblas_eorder_iiiT0_iiPiS6_PT_lS6_lS6_liS6_S8_S8_S8_S8_S6_S7_
; %bb.0:
	s_clause 0x1
	s_load_dword s0, s[4:5], 0xb4
	s_load_dword s1, s[4:5], 0x68
	s_waitcnt lgkmcnt(0)
	s_and_b32 s0, s0, 0xffff
	v_mad_u64_u32 v[4:5], null, s6, s0, v[0:1]
	s_mov_b32 s0, exec_lo
	v_cmpx_gt_i32_e64 s1, v4
	s_cbranch_execz .LBB18_61
; %bb.1:
	s_load_dwordx16 s[8:23], s[4:5], 0x28
	v_ashrrev_i32_e32 v5, 31, v4
	s_load_dwordx8 s[24:31], s[4:5], 0x70
	v_lshlrev_b64 v[0:1], 2, v[4:5]
	s_waitcnt lgkmcnt(0)
	v_add_co_u32 v2, vcc_lo, s10, v0
	v_add_co_ci_u32_e64 v3, null, s11, v1, vcc_lo
	v_mul_lo_u32 v10, s15, v4
	v_mul_lo_u32 v11, s14, v5
	;; [unrolled: 1-line block ×3, first 2 shown]
	global_load_dword v25, v[2:3], off
	s_clause 0x1
	s_load_dwordx4 s[36:39], s[4:5], 0x0
	s_load_dword s33, s[4:5], 0x10
	v_mad_u64_u32 v[2:3], null, s14, v4, 0
	v_mul_lo_u32 v14, s18, v5
	v_mad_u64_u32 v[6:7], null, s18, v4, 0
	v_mul_lo_u32 v15, s23, v4
	v_mul_lo_u32 v16, s22, v5
	v_mad_u64_u32 v[8:9], null, s22, v4, 0
	v_add3_u32 v3, v3, v11, v10
	v_add3_u32 v7, v7, v14, v13
	v_lshlrev_b64 v[2:3], 3, v[2:3]
	v_add3_u32 v9, v9, v16, v15
	v_lshlrev_b64 v[10:11], 2, v[6:7]
	s_waitcnt lgkmcnt(0)
	v_mul_lo_u32 v12, v4, s38
	s_cmpk_eq_i32 s36, 0xe9
	v_lshlrev_b64 v[6:7], 2, v[8:9]
	v_add_co_u32 v28, vcc_lo, s12, v2
	v_add_co_ci_u32_e64 v29, null, s13, v3, vcc_lo
	v_add_co_u32 v30, vcc_lo, s16, v10
	v_ashrrev_i32_e32 v13, 31, v12
	v_add_co_ci_u32_e64 v31, null, s17, v11, vcc_lo
	v_add_co_u32 v27, vcc_lo, s20, v6
	v_lshlrev_b64 v[8:9], 2, v[12:13]
	v_add_co_ci_u32_e64 v33, null, s21, v7, vcc_lo
	v_add_co_u32 v26, vcc_lo, s24, v8
	v_add_co_ci_u32_e64 v32, null, s25, v9, vcc_lo
	s_waitcnt vmcnt(0)
	v_cmp_gt_i32_e64 s0, 1, v25
	v_cmp_lt_i32_e32 vcc_lo, 0, v25
	s_cbranch_scc1 .LBB18_12
; %bb.2:
	v_mov_b32_e32 v8, 0
	s_and_saveexec_b32 s10, vcc_lo
	s_cbranch_execz .LBB18_14
; %bb.3:
	v_add_co_u32 v20, vcc_lo, s12, v2
	v_add_co_ci_u32_e64 v21, null, s13, v3, vcc_lo
	v_add_co_u32 v22, vcc_lo, s16, v10
	v_add_co_ci_u32_e64 v23, null, s17, v11, vcc_lo
	v_mov_b32_e32 v8, 0
	s_mov_b32 s3, 0
	s_mov_b32 s11, 0
	;; [unrolled: 1-line block ×3, first 2 shown]
	s_branch .LBB18_5
.LBB18_4:                               ;   in Loop: Header=BB18_5 Depth=1
	s_or_b32 exec_lo, exec_lo, s6
	s_add_i32 s2, s2, 1
	v_cmp_eq_u32_e32 vcc_lo, s2, v25
	s_or_b32 s11, vcc_lo, s11
	s_andn2_b32 exec_lo, exec_lo, s11
	s_cbranch_execz .LBB18_13
.LBB18_5:                               ; =>This Loop Header: Depth=1
                                        ;     Child Loop BB18_10 Depth 2
	s_cmp_eq_u32 s2, 0
	s_cbranch_scc1 .LBB18_7
; %bb.6:                                ;   in Loop: Header=BB18_5 Depth=1
	s_lshl_b64 s[6:7], s[2:3], 2
	v_add_co_u32 v6, vcc_lo, v27, s6
	v_add_co_ci_u32_e64 v7, null, s7, v33, vcc_lo
	s_mov_b64 s[6:7], s[2:3]
	global_load_dword v12, v[6:7], off offset:-4
	s_branch .LBB18_8
.LBB18_7:                               ;   in Loop: Header=BB18_5 Depth=1
	v_mov_b32_e32 v12, 0
	s_mov_b64 s[6:7], 0
.LBB18_8:                               ;   in Loop: Header=BB18_5 Depth=1
	s_lshl_b64 s[6:7], s[6:7], 2
	v_add_co_u32 v6, vcc_lo, v26, s6
	v_add_co_ci_u32_e64 v7, null, s7, v32, vcc_lo
	s_mov_b32 s6, exec_lo
	global_load_dword v9, v[6:7], off
	s_waitcnt vmcnt(0)
	v_cmpx_lt_i32_e32 0, v9
	s_cbranch_execz .LBB18_4
; %bb.9:                                ;   in Loop: Header=BB18_5 Depth=1
	v_ashrrev_i32_e32 v13, 31, v12
	v_ashrrev_i32_e32 v9, 31, v8
	s_mov_b32 s7, 0
	s_mov_b32 s14, 0
	v_lshlrev_b64 v[14:15], 3, v[12:13]
	v_lshlrev_b64 v[16:17], 2, v[12:13]
	;; [unrolled: 1-line block ×4, first 2 shown]
	v_add_co_u32 v12, vcc_lo, v20, v14
	v_add_co_ci_u32_e64 v13, null, v21, v15, vcc_lo
	v_add_co_u32 v14, vcc_lo, v22, v16
	v_add_co_ci_u32_e64 v15, null, v23, v17, vcc_lo
	;; [unrolled: 2-line block ×4, first 2 shown]
	.p2align	6
.LBB18_10:                              ;   Parent Loop BB18_5 Depth=1
                                        ; =>  This Inner Loop Header: Depth=2
	global_load_dword v9, v[14:15], off
	s_add_i32 s14, s14, 1
	s_waitcnt vmcnt(0)
	global_store_dword v[18:19], v9, off
	global_load_dword v24, v[6:7], off
	global_load_dwordx2 v[34:35], v[12:13], off
	v_add_co_u32 v12, vcc_lo, v12, 8
	v_add_co_ci_u32_e64 v13, null, 0, v13, vcc_lo
	v_add_co_u32 v14, vcc_lo, v14, 4
	v_add_co_ci_u32_e64 v15, null, 0, v15, vcc_lo
	v_add_co_u32 v18, s1, v18, 4
	v_add_nc_u32_e32 v9, s14, v8
	v_add_co_ci_u32_e64 v19, null, 0, v19, s1
	s_waitcnt vmcnt(0)
	global_store_dwordx2 v[16:17], v[34:35], off
	v_add_co_u32 v16, vcc_lo, v16, 8
	v_add_co_ci_u32_e64 v17, null, 0, v17, vcc_lo
	v_cmp_ge_i32_e32 vcc_lo, s14, v24
	s_or_b32 s7, vcc_lo, s7
	s_andn2_b32 exec_lo, exec_lo, s7
	s_cbranch_execnz .LBB18_10
; %bb.11:                               ;   in Loop: Header=BB18_5 Depth=1
	s_or_b32 exec_lo, exec_lo, s7
	v_mov_b32_e32 v8, v9
	s_branch .LBB18_4
.LBB18_12:
                                        ; implicit-def: $vgpr8
	s_branch .LBB18_15
.LBB18_13:
	s_or_b32 exec_lo, exec_lo, s11
.LBB18_14:
	s_or_b32 exec_lo, exec_lo, s10
	s_cbranch_execnz .LBB18_53
.LBB18_15:
	v_lshlrev_b64 v[5:6], 3, v[4:5]
	s_load_dwordx4 s[20:23], s[4:5], 0x90
	v_lshlrev_b32_e32 v12, 1, v4
                                        ; implicit-def: $sgpr2_sgpr3
	v_add_co_u32 v5, vcc_lo, s26, v5
	v_add_co_ci_u32_e64 v6, null, s27, v6, vcc_lo
	v_mul_lo_u32 v8, v12, s38
	global_load_dwordx2 v[5:6], v[5:6], off
	v_ashrrev_i32_e32 v9, 31, v8
	s_and_saveexec_b32 s1, s0
	s_xor_b32 s0, exec_lo, s1
; %bb.16:
	s_ashr_i32 s3, s38, 31
	s_mov_b32 s2, s38
                                        ; implicit-def: $vgpr25
                                        ; implicit-def: $vgpr26
                                        ; implicit-def: $vgpr32
                                        ; implicit-def: $vgpr27
                                        ; implicit-def: $vgpr33
                                        ; implicit-def: $vgpr10_vgpr11
; %bb.17:
	s_or_saveexec_b32 s14, s0
	v_lshlrev_b64 v[13:14], 3, v[8:9]
	v_lshlrev_b64 v[15:16], 2, v[8:9]
	v_mov_b32_e32 v9, s3
	v_mov_b32_e32 v7, 0
	;; [unrolled: 1-line block ×3, first 2 shown]
	s_xor_b32 exec_lo, exec_lo, s14
	s_cbranch_execz .LBB18_28
; %bb.18:
	v_add_co_u32 v34, vcc_lo, s12, v2
	v_add_co_ci_u32_e64 v35, null, s13, v3, vcc_lo
	v_add_co_u32 v36, vcc_lo, s16, v10
	v_add_co_ci_u32_e64 v11, null, s17, v11, vcc_lo
	s_waitcnt lgkmcnt(0)
	v_add_co_u32 v37, vcc_lo, s20, v13
	v_add_co_ci_u32_e64 v38, null, s21, v14, vcc_lo
	v_add_co_u32 v39, vcc_lo, s22, v15
	v_add_co_ci_u32_e64 v40, null, s23, v16, vcc_lo
	v_mov_b32_e32 v7, 0
	s_ashr_i32 s3, s38, 31
	s_mov_b32 s2, s38
	s_mov_b32 s11, 0
	s_lshl_b64 s[6:7], s[2:3], 3
	s_mov_b32 s15, 0
	s_mov_b32 s10, s11
	s_branch .LBB18_20
.LBB18_19:                              ;   in Loop: Header=BB18_20 Depth=1
	s_or_b32 exec_lo, exec_lo, s1
	s_add_i32 s10, s10, 1
	v_cmp_eq_u32_e32 vcc_lo, s10, v25
	s_or_b32 s15, vcc_lo, s15
	s_andn2_b32 exec_lo, exec_lo, s15
	s_cbranch_execz .LBB18_27
.LBB18_20:                              ; =>This Loop Header: Depth=1
                                        ;     Child Loop BB18_25 Depth 2
	s_cmp_eq_u32 s10, 0
	s_cbranch_scc1 .LBB18_22
; %bb.21:                               ;   in Loop: Header=BB18_20 Depth=1
	s_lshl_b64 s[0:1], s[10:11], 2
	v_add_co_u32 v8, vcc_lo, v27, s0
	v_add_co_ci_u32_e64 v9, null, s1, v33, vcc_lo
	s_mov_b64 s[0:1], s[10:11]
	global_load_dword v17, v[8:9], off offset:-4
	s_branch .LBB18_23
.LBB18_22:                              ;   in Loop: Header=BB18_20 Depth=1
	v_mov_b32_e32 v17, 0
	s_mov_b64 s[0:1], 0
.LBB18_23:                              ;   in Loop: Header=BB18_20 Depth=1
	s_lshl_b64 s[0:1], s[0:1], 2
	v_add_co_u32 v9, vcc_lo, v26, s0
	v_add_co_ci_u32_e64 v10, null, s1, v32, vcc_lo
	s_mov_b32 s1, exec_lo
	global_load_dword v8, v[9:10], off
	s_waitcnt vmcnt(0)
	v_cmpx_lt_i32_e32 0, v8
	s_cbranch_execz .LBB18_19
; %bb.24:                               ;   in Loop: Header=BB18_20 Depth=1
	v_ashrrev_i32_e32 v18, 31, v17
	v_ashrrev_i32_e32 v8, 31, v7
	s_mov_b32 s18, 0
	s_mov_b32 s19, 0
	v_lshlrev_b64 v[19:20], 3, v[17:18]
	v_lshlrev_b64 v[21:22], 2, v[17:18]
	;; [unrolled: 1-line block ×4, first 2 shown]
	v_add_co_u32 v17, vcc_lo, v34, v19
	v_add_co_ci_u32_e64 v18, null, v35, v20, vcc_lo
	v_add_co_u32 v19, vcc_lo, v36, v21
	v_add_co_ci_u32_e64 v20, null, v11, v22, vcc_lo
	;; [unrolled: 2-line block ×4, first 2 shown]
	s_inst_prefetch 0x1
	.p2align	6
.LBB18_25:                              ;   Parent Loop BB18_20 Depth=1
                                        ; =>  This Inner Loop Header: Depth=2
	global_load_dword v8, v[19:20], off
	v_add_co_u32 v43, vcc_lo, v21, s6
	v_add_co_ci_u32_e64 v44, null, s7, v22, vcc_lo
	s_add_i32 s19, s19, 1
	s_waitcnt vmcnt(0)
	global_store_dword v[23:24], v8, off
	global_load_dword v45, v[9:10], off
	global_load_dwordx2 v[41:42], v[17:18], off
	v_add_co_u32 v17, vcc_lo, v17, 8
	v_add_co_ci_u32_e64 v18, null, 0, v18, vcc_lo
	v_add_co_u32 v19, vcc_lo, v19, 4
	v_add_co_ci_u32_e64 v20, null, 0, v20, vcc_lo
	v_add_co_u32 v23, s0, v23, 4
	v_add_nc_u32_e32 v8, s19, v7
	v_add_co_ci_u32_e64 v24, null, 0, v24, s0
	s_waitcnt vmcnt(0)
	global_store_dwordx2 v[21:22], v[41:42], off
	v_add_co_u32 v21, vcc_lo, v21, 8
	v_add_co_ci_u32_e64 v22, null, 0, v22, vcc_lo
	v_cmp_ge_i32_e32 vcc_lo, s19, v45
	global_store_dwordx2 v[43:44], v[41:42], off
	s_or_b32 s18, vcc_lo, s18
	s_andn2_b32 exec_lo, exec_lo, s18
	s_cbranch_execnz .LBB18_25
; %bb.26:                               ;   in Loop: Header=BB18_20 Depth=1
	s_inst_prefetch 0x2
	s_or_b32 exec_lo, exec_lo, s18
	v_mov_b32_e32 v7, v8
	s_branch .LBB18_19
.LBB18_27:
	s_or_b32 exec_lo, exec_lo, s15
	v_mov_b32_e32 v9, s3
	v_mov_b32_e32 v8, s2
.LBB18_28:
	s_or_b32 exec_lo, exec_lo, s14
; %bb.29:
	v_lshlrev_b64 v[17:18], 3, v[8:9]
	s_waitcnt lgkmcnt(0)
	v_add_co_u32 v32, vcc_lo, s20, v13
	v_add_co_ci_u32_e64 v33, null, s21, v14, vcc_lo
	v_add_co_u32 v34, vcc_lo, s22, v15
	v_add_co_ci_u32_e64 v35, null, s23, v16, vcc_lo
	;; [unrolled: 2-line block ×3, first 2 shown]
	s_mov_b32 s2, 1
	s_mov_b32 s6, exec_lo
	v_cmpx_lt_i32_e32 1, v7
	s_cbranch_execz .LBB18_37
; %bb.30:
	v_lshlrev_b64 v[8:9], 2, v[8:9]
	v_add_co_u32 v13, vcc_lo, v17, v13
	v_add_co_ci_u32_e64 v14, null, v18, v14, vcc_lo
	s_cmp_lg_u64 s[22:23], 0
	v_add_co_u32 v23, vcc_lo, v34, v8
	v_add_co_ci_u32_e64 v24, null, v35, v9, vcc_lo
	v_add_co_u32 v8, vcc_lo, s20, v13
	v_add_co_ci_u32_e64 v9, null, s21, v14, vcc_lo
	s_cselect_b32 s7, -1, 0
	v_add_co_u32 v8, vcc_lo, v8, 8
	v_add_co_ci_u32_e64 v9, null, 0, v9, vcc_lo
	s_mov_b32 s10, 0
	s_branch .LBB18_32
.LBB18_31:                              ;   in Loop: Header=BB18_32 Depth=1
	s_or_b32 exec_lo, exec_lo, s0
	s_add_i32 s2, s2, 1
	v_add_co_u32 v8, s0, v8, 8
	v_cmp_eq_u32_e32 vcc_lo, s2, v7
	v_add_co_ci_u32_e64 v9, null, 0, v9, s0
	s_or_b32 s10, vcc_lo, s10
	s_andn2_b32 exec_lo, exec_lo, s10
	s_cbranch_execz .LBB18_37
.LBB18_32:                              ; =>This Loop Header: Depth=1
                                        ;     Child Loop BB18_33 Depth 2
	s_ashr_i32 s3, s2, 31
	s_add_i32 s11, s2, -1
	s_lshl_b64 s[0:1], s[2:3], 3
	v_mov_b32_e32 v22, v9
	v_add_co_u32 v15, vcc_lo, v10, s0
	v_add_co_ci_u32_e64 v16, null, s1, v11, vcc_lo
	v_mov_b32_e32 v13, s11
	v_mov_b32_e32 v21, v8
	s_mov_b32 s14, 0
	global_load_dwordx2 v[17:18], v[15:16], off offset:-8
	s_mov_b32 s15, s2
	s_waitcnt vmcnt(0)
	v_mov_b32_e32 v20, v18
	v_mov_b32_e32 v19, v17
	.p2align	6
.LBB18_33:                              ;   Parent Loop BB18_32 Depth=1
                                        ; =>  This Inner Loop Header: Depth=2
	global_load_dwordx2 v[25:26], v[21:22], off
	v_add_co_u32 v21, s0, v21, 8
	v_add_co_ci_u32_e64 v22, null, 0, v22, s0
	s_waitcnt vmcnt(0)
	v_cmp_lt_f64_e32 vcc_lo, v[25:26], v[19:20]
	v_cndmask_b32_e64 v13, v13, s15, vcc_lo
	s_add_i32 s15, s15, 1
	v_cndmask_b32_e32 v20, v20, v26, vcc_lo
	v_cmp_eq_u32_e64 s1, s15, v7
	v_cndmask_b32_e32 v19, v19, v25, vcc_lo
	s_or_b32 s14, s1, s14
	s_andn2_b32 exec_lo, exec_lo, s14
	s_cbranch_execnz .LBB18_33
; %bb.34:                               ;   in Loop: Header=BB18_32 Depth=1
	s_or_b32 exec_lo, exec_lo, s14
	s_mov_b32 s0, exec_lo
	v_cmpx_ne_u32_e64 s11, v13
	s_cbranch_execz .LBB18_31
; %bb.35:                               ;   in Loop: Header=BB18_32 Depth=1
	v_ashrrev_i32_e32 v14, 31, v13
	v_lshlrev_b64 v[21:22], 3, v[13:14]
	v_add_co_u32 v21, vcc_lo, v10, v21
	v_add_co_ci_u32_e64 v22, null, v11, v22, vcc_lo
	s_andn2_b32 vcc_lo, exec_lo, s7
	global_store_dwordx2 v[21:22], v[17:18], off
	global_store_dwordx2 v[15:16], v[19:20], off offset:-8
	s_cbranch_vccnz .LBB18_31
; %bb.36:                               ;   in Loop: Header=BB18_32 Depth=1
	v_lshlrev_b64 v[13:14], 2, v[13:14]
	s_lshl_b64 s[14:15], s[2:3], 2
	v_add_co_u32 v15, vcc_lo, v23, s14
	v_add_co_ci_u32_e64 v16, null, s15, v24, vcc_lo
	v_add_co_u32 v13, vcc_lo, v23, v13
	v_add_co_ci_u32_e64 v14, null, v24, v14, vcc_lo
	s_clause 0x1
	global_load_dword v17, v[15:16], off offset:-4
	global_load_dword v18, v[13:14], off
	s_waitcnt vmcnt(1)
	global_store_dword v[13:14], v17, off
	s_waitcnt vmcnt(0)
	global_store_dword v[15:16], v18, off offset:-4
	s_branch .LBB18_31
.LBB18_37:
	s_or_b32 exec_lo, exec_lo, s6
	v_mov_b32_e32 v8, 0
	s_mov_b32 s6, exec_lo
	v_cmpx_lt_i32_e32 0, v7
	s_cbranch_execz .LBB18_52
; %bb.38:
	s_load_dwordx4 s[0:3], s[4:5], 0x18
	s_add_i32 s4, s38, -1
	v_ashrrev_i32_e32 v13, 31, v12
	v_mul_lo_u32 v8, v4, s4
	v_add_nc_u32_e32 v36, -1, v7
	s_waitcnt vmcnt(0)
	v_xor_b32_e32 v38, 0x80000000, v6
	v_lshlrev_b64 v[12:13], 3, v[12:13]
	v_ashrrev_i32_e32 v9, 31, v8
	v_lshlrev_b64 v[8:9], 3, v[8:9]
	s_waitcnt lgkmcnt(0)
	v_mad_i64_i32 v[14:15], null, v4, s3, 0
	s_ashr_i32 s11, s2, 31
	s_mov_b32 s10, s2
	v_add_co_u32 v4, vcc_lo, s30, v12
	s_lshl_b64 s[2:3], s[10:11], 3
	v_add_co_ci_u32_e64 v37, null, s31, v13, vcc_lo
	v_lshlrev_b64 v[14:15], 3, v[14:15]
	s_cmp_gt_i32 s38, 1
	v_add_co_u32 v12, vcc_lo, s28, v8
	v_add_co_ci_u32_e64 v13, null, s29, v9, vcc_lo
	s_cselect_b32 s5, -1, 0
	s_add_u32 s7, s0, s2
	v_add_co_u32 v8, vcc_lo, s0, v14
	s_addc_u32 s10, s1, s3
	v_add_co_ci_u32_e64 v9, null, s1, v15, vcc_lo
	v_add_co_u32 v16, vcc_lo, s7, v14
	v_add_co_ci_u32_e64 v17, null, s10, v15, vcc_lo
	v_add_co_u32 v14, vcc_lo, v8, s2
	;; [unrolled: 2-line block ×3, first 2 shown]
	v_add_co_ci_u32_e64 v17, null, 0, v17, vcc_lo
	v_mov_b32_e32 v8, 0
	s_mov_b32 s3, 0
	s_mov_b32 s1, 0
	;; [unrolled: 1-line block ×3, first 2 shown]
	s_branch .LBB18_41
.LBB18_39:                              ;   in Loop: Header=BB18_41 Depth=1
	s_or_b32 exec_lo, exec_lo, s0
.LBB18_40:                              ;   in Loop: Header=BB18_41 Depth=1
	s_or_b32 exec_lo, exec_lo, s7
	s_add_i32 s2, s2, 1
	v_cmp_eq_u32_e32 vcc_lo, s2, v7
	s_or_b32 s1, vcc_lo, s1
	s_andn2_b32 exec_lo, exec_lo, s1
	s_cbranch_execz .LBB18_51
.LBB18_41:                              ; =>This Loop Header: Depth=1
                                        ;     Child Loop BB18_43 Depth 2
                                        ;     Child Loop BB18_48 Depth 2
	s_lshl_b64 s[10:11], s[2:3], 3
	v_mov_b32_e32 v25, v11
	v_add_co_u32 v18, vcc_lo, v32, s10
	v_add_co_ci_u32_e64 v19, null, s11, v33, vcc_lo
	v_mov_b32_e32 v24, v10
	s_mov_b32 s7, s3
	s_mov_b32 s15, s3
	global_load_dwordx2 v[18:19], v[18:19], off
                                        ; implicit-def: $sgpr10
                                        ; implicit-def: $sgpr14
                                        ; implicit-def: $sgpr11
	s_inst_prefetch 0x1
	s_branch .LBB18_43
	.p2align	6
.LBB18_42:                              ;   in Loop: Header=BB18_43 Depth=2
	s_or_b32 exec_lo, exec_lo, s19
	s_and_b32 s0, exec_lo, s14
	v_mov_b32_e32 v9, s15
	s_or_b32 s7, s0, s7
	s_andn2_b32 s0, s10, exec_lo
	s_and_b32 s10, s11, exec_lo
	s_mov_b32 s15, s18
	s_or_b32 s10, s0, s10
	s_andn2_b32 exec_lo, exec_lo, s7
	s_cbranch_execz .LBB18_45
.LBB18_43:                              ;   Parent Loop BB18_41 Depth=1
                                        ; =>  This Inner Loop Header: Depth=2
	global_load_dwordx2 v[20:21], v[24:25], off
	v_mov_b32_e32 v22, v24
	v_mov_b32_e32 v23, v25
	s_or_b32 s11, s11, exec_lo
	s_or_b32 s14, s14, exec_lo
	s_mov_b32 s19, exec_lo
                                        ; implicit-def: $sgpr18
                                        ; implicit-def: $vgpr24_vgpr25
	s_waitcnt vmcnt(0)
	v_cmpx_neq_f64_e32 v[18:19], v[20:21]
	s_cbranch_execz .LBB18_42
; %bb.44:                               ;   in Loop: Header=BB18_43 Depth=2
	s_add_i32 s18, s15, 1
	v_add_co_u32 v24, s0, v22, 8
	v_cmp_eq_u32_e32 vcc_lo, s18, v7
	v_add_co_ci_u32_e64 v25, null, 0, v23, s0
	s_andn2_b32 s0, s14, exec_lo
	s_andn2_b32 s11, s11, exec_lo
	s_and_b32 s14, vcc_lo, exec_lo
	s_or_b32 s14, s0, s14
	s_branch .LBB18_42
.LBB18_45:                              ;   in Loop: Header=BB18_41 Depth=1
	s_inst_prefetch 0x2
	s_or_b32 exec_lo, exec_lo, s7
	s_and_saveexec_b32 s0, s10
	s_xor_b32 s7, exec_lo, s0
	s_cbranch_execz .LBB18_40
; %bb.46:                               ;   in Loop: Header=BB18_41 Depth=1
	v_cmp_eq_u32_e32 vcc_lo, v9, v36
	v_cndmask_b32_e32 v23, v23, v37, vcc_lo
	v_cndmask_b32_e32 v22, v22, v4, vcc_lo
	s_andn2_b32 vcc_lo, exec_lo, s5
	global_load_dwordx2 v[22:23], v[22:23], off offset:8
	global_load_dwordx2 v[24:25], v[14:15], off
	s_waitcnt vmcnt(1)
	v_add_f64 v[20:21], v[22:23], -v[20:21]
	v_fma_f64 v[20:21], v[20:21], 0.5, v[18:19]
	s_waitcnt vmcnt(0)
	v_add_f64 v[24:25], v[24:25], -v[20:21]
	v_cmp_le_f64_e64 s0, v[24:25], v[5:6]
	v_cndmask_b32_e64 v9, 0, 1, s0
	s_cbranch_vccnz .LBB18_49
; %bb.47:                               ;   in Loop: Header=BB18_41 Depth=1
	v_cmp_gt_f64_e64 s10, v[24:25], -v[5:6]
	v_mov_b32_e32 v23, v13
	v_mov_b32_e32 v22, v12
	s_and_b32 vcc_lo, s0, s10
	s_mov_b32 s10, s4
	v_cndmask_b32_e32 v27, v25, v38, vcc_lo
	v_cndmask_b32_e32 v26, v24, v5, vcc_lo
	v_mov_b32_e32 v25, v17
	v_mov_b32_e32 v24, v16
	s_inst_prefetch 0x1
	.p2align	6
.LBB18_48:                              ;   Parent Loop BB18_41 Depth=1
                                        ; =>  This Inner Loop Header: Depth=2
	global_load_dwordx2 v[39:40], v[22:23], off
	global_load_dwordx2 v[41:42], v[24:25], off
	v_add_co_u32 v24, s0, v24, 8
	v_add_co_ci_u32_e64 v25, null, 0, v25, s0
	v_add_co_u32 v22, s0, v22, 8
	v_add_co_ci_u32_e64 v23, null, 0, v23, s0
	s_add_i32 s10, s10, -1
	s_waitcnt vmcnt(1)
	v_div_scale_f64 v[43:44], null, v[26:27], v[26:27], v[39:40]
	v_div_scale_f64 v[49:50], vcc_lo, v[39:40], v[26:27], v[39:40]
	s_waitcnt vmcnt(0)
	v_add_f64 v[41:42], v[41:42], -v[20:21]
	v_rcp_f64_e32 v[45:46], v[43:44]
	v_fma_f64 v[47:48], -v[43:44], v[45:46], 1.0
	v_fma_f64 v[45:46], v[45:46], v[47:48], v[45:46]
	v_fma_f64 v[47:48], -v[43:44], v[45:46], 1.0
	v_fma_f64 v[45:46], v[45:46], v[47:48], v[45:46]
	v_mul_f64 v[47:48], v[49:50], v[45:46]
	v_fma_f64 v[43:44], -v[43:44], v[47:48], v[49:50]
	v_div_fmas_f64 v[43:44], v[43:44], v[45:46], v[47:48]
	v_div_fixup_f64 v[26:27], v[43:44], v[26:27], v[39:40]
	v_add_f64 v[26:27], v[41:42], -v[26:27]
	v_cmp_le_f64_e32 vcc_lo, v[26:27], v[5:6]
	v_cmp_gt_f64_e64 s11, v[26:27], -v[5:6]
	v_add_co_ci_u32_e64 v9, null, 0, v9, vcc_lo
	s_and_b32 vcc_lo, vcc_lo, s11
	s_cmp_lg_u32 s10, 0
	v_cndmask_b32_e32 v27, v27, v38, vcc_lo
	v_cndmask_b32_e32 v26, v26, v5, vcc_lo
	s_cbranch_scc1 .LBB18_48
.LBB18_49:                              ;   in Loop: Header=BB18_41 Depth=1
	s_inst_prefetch 0x2
	v_cmp_le_i32_e32 vcc_lo, s39, v9
	v_cmp_ge_i32_e64 s0, s33, v9
	s_and_b32 s10, vcc_lo, s0
	s_and_saveexec_b32 s0, s10
	s_cbranch_execz .LBB18_39
; %bb.50:                               ;   in Loop: Header=BB18_41 Depth=1
	s_lshl_b64 s[10:11], s[2:3], 2
	v_ashrrev_i32_e32 v9, 31, v8
	v_add_co_u32 v20, vcc_lo, v34, s10
	v_add_co_ci_u32_e64 v21, null, s11, v35, vcc_lo
	v_lshlrev_b64 v[22:23], 2, v[8:9]
	global_load_dword v24, v[20:21], off
	v_lshlrev_b64 v[20:21], 3, v[8:9]
	v_add_nc_u32_e32 v8, 1, v8
	v_add_co_u32 v20, vcc_lo, v28, v20
	v_add_co_ci_u32_e64 v21, null, v29, v21, vcc_lo
	v_add_co_u32 v22, vcc_lo, v30, v22
	v_add_co_ci_u32_e64 v23, null, v31, v23, vcc_lo
	global_store_dwordx2 v[20:21], v[18:19], off
	s_waitcnt vmcnt(0)
	global_store_dword v[22:23], v24, off
	s_branch .LBB18_39
.LBB18_51:
	s_or_b32 exec_lo, exec_lo, s1
.LBB18_52:
	s_or_b32 exec_lo, exec_lo, s6
.LBB18_53:
	v_add_co_u32 v0, vcc_lo, s8, v0
	v_add_co_ci_u32_e64 v1, null, s9, v1, vcc_lo
	v_cmp_lt_i32_e32 vcc_lo, 1, v8
	s_cmpk_eq_i32 s37, 0xf2
	s_mov_b32 s2, 1
	s_cselect_b32 s0, -1, 0
	global_store_dword v[0:1], v8, off
	s_and_b32 s0, s0, vcc_lo
	s_and_b32 exec_lo, exec_lo, s0
	s_cbranch_execz .LBB18_61
; %bb.54:
	v_add_co_u32 v0, vcc_lo, s12, v2
	v_add_co_ci_u32_e64 v1, null, s13, v3, vcc_lo
	s_cmp_lg_u64 s[16:17], 0
	v_add_co_u32 v0, vcc_lo, v0, 8
	v_add_co_ci_u32_e64 v1, null, 0, v1, vcc_lo
	s_cselect_b32 s4, -1, 0
	s_mov_b32 s5, 0
	s_branch .LBB18_56
.LBB18_55:                              ;   in Loop: Header=BB18_56 Depth=1
	s_or_b32 exec_lo, exec_lo, s0
	s_add_i32 s2, s2, 1
	v_add_co_u32 v0, s0, v0, 8
	v_cmp_eq_u32_e32 vcc_lo, s2, v8
	v_add_co_ci_u32_e64 v1, null, 0, v1, s0
	s_or_b32 s5, vcc_lo, s5
	s_andn2_b32 exec_lo, exec_lo, s5
	s_cbranch_execz .LBB18_61
.LBB18_56:                              ; =>This Loop Header: Depth=1
                                        ;     Child Loop BB18_57 Depth 2
	s_ashr_i32 s3, s2, 31
	s_add_i32 s6, s2, -1
	s_lshl_b64 s[0:1], s[2:3], 3
	v_mov_b32_e32 v12, v1
	v_add_co_u32 v4, vcc_lo, v28, s0
	s_waitcnt vmcnt(0)
	v_add_co_ci_u32_e64 v5, null, s1, v29, vcc_lo
	v_mov_b32_e32 v2, s6
	v_mov_b32_e32 v11, v0
	s_mov_b32 s7, 0
	global_load_dwordx2 v[6:7], v[4:5], off offset:-8
	s_mov_b32 s8, s2
	s_waitcnt vmcnt(0)
	v_mov_b32_e32 v10, v7
	v_mov_b32_e32 v9, v6
	.p2align	6
.LBB18_57:                              ;   Parent Loop BB18_56 Depth=1
                                        ; =>  This Inner Loop Header: Depth=2
	global_load_dwordx2 v[13:14], v[11:12], off
	v_add_co_u32 v11, s0, v11, 8
	v_add_co_ci_u32_e64 v12, null, 0, v12, s0
	s_waitcnt vmcnt(0)
	v_cmp_lt_f64_e32 vcc_lo, v[13:14], v[9:10]
	v_cndmask_b32_e64 v2, v2, s8, vcc_lo
	s_add_i32 s8, s8, 1
	v_cndmask_b32_e32 v10, v10, v14, vcc_lo
	v_cmp_eq_u32_e64 s1, s8, v8
	v_cndmask_b32_e32 v9, v9, v13, vcc_lo
	s_or_b32 s7, s1, s7
	s_andn2_b32 exec_lo, exec_lo, s7
	s_cbranch_execnz .LBB18_57
; %bb.58:                               ;   in Loop: Header=BB18_56 Depth=1
	s_or_b32 exec_lo, exec_lo, s7
	s_mov_b32 s0, exec_lo
	v_cmpx_ne_u32_e64 s6, v2
	s_cbranch_execz .LBB18_55
; %bb.59:                               ;   in Loop: Header=BB18_56 Depth=1
	v_ashrrev_i32_e32 v3, 31, v2
	v_lshlrev_b64 v[11:12], 3, v[2:3]
	v_add_co_u32 v11, vcc_lo, v28, v11
	v_add_co_ci_u32_e64 v12, null, v29, v12, vcc_lo
	s_andn2_b32 vcc_lo, exec_lo, s4
	global_store_dwordx2 v[11:12], v[6:7], off
	global_store_dwordx2 v[4:5], v[9:10], off offset:-8
	s_cbranch_vccnz .LBB18_55
; %bb.60:                               ;   in Loop: Header=BB18_56 Depth=1
	v_lshlrev_b64 v[2:3], 2, v[2:3]
	s_lshl_b64 s[6:7], s[2:3], 2
	v_add_co_u32 v4, vcc_lo, v30, s6
	v_add_co_ci_u32_e64 v5, null, s7, v31, vcc_lo
	v_add_co_u32 v2, vcc_lo, v30, v2
	v_add_co_ci_u32_e64 v3, null, v31, v3, vcc_lo
	s_clause 0x1
	global_load_dword v6, v[4:5], off offset:-4
	global_load_dword v7, v[2:3], off
	s_waitcnt vmcnt(1)
	global_store_dword v[2:3], v6, off
	s_waitcnt vmcnt(0)
	global_store_dword v[4:5], v7, off offset:-4
	s_branch .LBB18_55
.LBB18_61:
	s_endpgm
	.section	.rodata,"a",@progbits
	.p2align	6, 0x0
	.amdhsa_kernel _ZN9rocsolver6v33100L22stebz_synthesis_kernelIdPdEEv15rocblas_erange_15rocblas_eorder_iiiT0_iiPiS6_PT_lS6_lS6_liS6_S8_S8_S8_S8_S6_S7_
		.amdhsa_group_segment_fixed_size 0
		.amdhsa_private_segment_fixed_size 0
		.amdhsa_kernarg_size 424
		.amdhsa_user_sgpr_count 6
		.amdhsa_user_sgpr_private_segment_buffer 1
		.amdhsa_user_sgpr_dispatch_ptr 0
		.amdhsa_user_sgpr_queue_ptr 0
		.amdhsa_user_sgpr_kernarg_segment_ptr 1
		.amdhsa_user_sgpr_dispatch_id 0
		.amdhsa_user_sgpr_flat_scratch_init 0
		.amdhsa_user_sgpr_private_segment_size 0
		.amdhsa_wavefront_size32 1
		.amdhsa_uses_dynamic_stack 0
		.amdhsa_system_sgpr_private_segment_wavefront_offset 0
		.amdhsa_system_sgpr_workgroup_id_x 1
		.amdhsa_system_sgpr_workgroup_id_y 0
		.amdhsa_system_sgpr_workgroup_id_z 0
		.amdhsa_system_sgpr_workgroup_info 0
		.amdhsa_system_vgpr_workitem_id 0
		.amdhsa_next_free_vgpr 51
		.amdhsa_next_free_sgpr 40
		.amdhsa_reserve_vcc 1
		.amdhsa_reserve_flat_scratch 0
		.amdhsa_float_round_mode_32 0
		.amdhsa_float_round_mode_16_64 0
		.amdhsa_float_denorm_mode_32 3
		.amdhsa_float_denorm_mode_16_64 3
		.amdhsa_dx10_clamp 1
		.amdhsa_ieee_mode 1
		.amdhsa_fp16_overflow 0
		.amdhsa_workgroup_processor_mode 1
		.amdhsa_memory_ordered 1
		.amdhsa_forward_progress 1
		.amdhsa_shared_vgpr_count 0
		.amdhsa_exception_fp_ieee_invalid_op 0
		.amdhsa_exception_fp_denorm_src 0
		.amdhsa_exception_fp_ieee_div_zero 0
		.amdhsa_exception_fp_ieee_overflow 0
		.amdhsa_exception_fp_ieee_underflow 0
		.amdhsa_exception_fp_ieee_inexact 0
		.amdhsa_exception_int_div_zero 0
	.end_amdhsa_kernel
	.section	.text._ZN9rocsolver6v33100L22stebz_synthesis_kernelIdPdEEv15rocblas_erange_15rocblas_eorder_iiiT0_iiPiS6_PT_lS6_lS6_liS6_S8_S8_S8_S8_S6_S7_,"axG",@progbits,_ZN9rocsolver6v33100L22stebz_synthesis_kernelIdPdEEv15rocblas_erange_15rocblas_eorder_iiiT0_iiPiS6_PT_lS6_lS6_liS6_S8_S8_S8_S8_S6_S7_,comdat
.Lfunc_end18:
	.size	_ZN9rocsolver6v33100L22stebz_synthesis_kernelIdPdEEv15rocblas_erange_15rocblas_eorder_iiiT0_iiPiS6_PT_lS6_lS6_liS6_S8_S8_S8_S8_S6_S7_, .Lfunc_end18-_ZN9rocsolver6v33100L22stebz_synthesis_kernelIdPdEEv15rocblas_erange_15rocblas_eorder_iiiT0_iiPiS6_PT_lS6_lS6_liS6_S8_S8_S8_S8_S6_S7_
                                        ; -- End function
	.set _ZN9rocsolver6v33100L22stebz_synthesis_kernelIdPdEEv15rocblas_erange_15rocblas_eorder_iiiT0_iiPiS6_PT_lS6_lS6_liS6_S8_S8_S8_S8_S6_S7_.num_vgpr, 51
	.set _ZN9rocsolver6v33100L22stebz_synthesis_kernelIdPdEEv15rocblas_erange_15rocblas_eorder_iiiT0_iiPiS6_PT_lS6_lS6_liS6_S8_S8_S8_S8_S6_S7_.num_agpr, 0
	.set _ZN9rocsolver6v33100L22stebz_synthesis_kernelIdPdEEv15rocblas_erange_15rocblas_eorder_iiiT0_iiPiS6_PT_lS6_lS6_liS6_S8_S8_S8_S8_S6_S7_.numbered_sgpr, 40
	.set _ZN9rocsolver6v33100L22stebz_synthesis_kernelIdPdEEv15rocblas_erange_15rocblas_eorder_iiiT0_iiPiS6_PT_lS6_lS6_liS6_S8_S8_S8_S8_S6_S7_.num_named_barrier, 0
	.set _ZN9rocsolver6v33100L22stebz_synthesis_kernelIdPdEEv15rocblas_erange_15rocblas_eorder_iiiT0_iiPiS6_PT_lS6_lS6_liS6_S8_S8_S8_S8_S6_S7_.private_seg_size, 0
	.set _ZN9rocsolver6v33100L22stebz_synthesis_kernelIdPdEEv15rocblas_erange_15rocblas_eorder_iiiT0_iiPiS6_PT_lS6_lS6_liS6_S8_S8_S8_S8_S6_S7_.uses_vcc, 1
	.set _ZN9rocsolver6v33100L22stebz_synthesis_kernelIdPdEEv15rocblas_erange_15rocblas_eorder_iiiT0_iiPiS6_PT_lS6_lS6_liS6_S8_S8_S8_S8_S6_S7_.uses_flat_scratch, 0
	.set _ZN9rocsolver6v33100L22stebz_synthesis_kernelIdPdEEv15rocblas_erange_15rocblas_eorder_iiiT0_iiPiS6_PT_lS6_lS6_liS6_S8_S8_S8_S8_S6_S7_.has_dyn_sized_stack, 0
	.set _ZN9rocsolver6v33100L22stebz_synthesis_kernelIdPdEEv15rocblas_erange_15rocblas_eorder_iiiT0_iiPiS6_PT_lS6_lS6_liS6_S8_S8_S8_S8_S6_S7_.has_recursion, 0
	.set _ZN9rocsolver6v33100L22stebz_synthesis_kernelIdPdEEv15rocblas_erange_15rocblas_eorder_iiiT0_iiPiS6_PT_lS6_lS6_liS6_S8_S8_S8_S8_S6_S7_.has_indirect_call, 0
	.section	.AMDGPU.csdata,"",@progbits
; Kernel info:
; codeLenInByte = 3568
; TotalNumSgprs: 42
; NumVgprs: 51
; ScratchSize: 0
; MemoryBound: 0
; FloatMode: 240
; IeeeMode: 1
; LDSByteSize: 0 bytes/workgroup (compile time only)
; SGPRBlocks: 0
; VGPRBlocks: 6
; NumSGPRsForWavesPerEU: 42
; NumVGPRsForWavesPerEU: 51
; Occupancy: 16
; WaveLimiterHint : 1
; COMPUTE_PGM_RSRC2:SCRATCH_EN: 0
; COMPUTE_PGM_RSRC2:USER_SGPR: 6
; COMPUTE_PGM_RSRC2:TRAP_HANDLER: 0
; COMPUTE_PGM_RSRC2:TGID_X_EN: 1
; COMPUTE_PGM_RSRC2:TGID_Y_EN: 0
; COMPUTE_PGM_RSRC2:TGID_Z_EN: 0
; COMPUTE_PGM_RSRC2:TIDIG_COMP_CNT: 0
	.section	.text._ZN9rocsolver6v33100L15bdsvdx_abs_eigsIdEEviPiPT_lS4_,"axG",@progbits,_ZN9rocsolver6v33100L15bdsvdx_abs_eigsIdEEviPiPT_lS4_,comdat
	.globl	_ZN9rocsolver6v33100L15bdsvdx_abs_eigsIdEEviPiPT_lS4_ ; -- Begin function _ZN9rocsolver6v33100L15bdsvdx_abs_eigsIdEEviPiPT_lS4_
	.p2align	8
	.type	_ZN9rocsolver6v33100L15bdsvdx_abs_eigsIdEEviPiPT_lS4_,@function
_ZN9rocsolver6v33100L15bdsvdx_abs_eigsIdEEviPiPT_lS4_: ; @_ZN9rocsolver6v33100L15bdsvdx_abs_eigsIdEEviPiPT_lS4_
; %bb.0:
	s_load_dwordx8 s[8:15], s[4:5], 0x8
	s_mov_b32 s0, s7
	s_ashr_i32 s1, s7, 31
	s_lshl_b64 s[2:3], s[0:1], 2
	s_waitcnt lgkmcnt(0)
	s_add_u32 s2, s8, s2
	s_addc_u32 s3, s9, s3
	s_load_dword s7, s[4:5], 0x0
	s_load_dword s8, s[2:3], 0x0
	;; [unrolled: 1-line block ×3, first 2 shown]
	s_waitcnt lgkmcnt(0)
	s_cmp_le_i32 s8, s7
	s_cbranch_scc1 .LBB19_2
; %bb.1:
	v_mov_b32_e32 v1, 0
	v_mov_b32_e32 v2, s7
	s_mov_b32 s8, s7
	global_store_dword v1, v2, s[2:3]
.LBB19_2:
	s_and_b32 s2, 0xffff, s4
	v_mad_u64_u32 v[0:1], null, s6, s2, v[0:1]
	s_mov_b32 s2, exec_lo
	v_cmpx_gt_i32_e64 s8, v0
	s_cbranch_execz .LBB19_4
; %bb.3:
	s_mul_i32 s1, s12, s1
	s_mul_hi_u32 s2, s12, s0
	s_mul_i32 s3, s13, s0
	s_add_i32 s1, s2, s1
	s_mul_i32 s2, s12, s0
	s_add_i32 s3, s1, s3
	v_ashrrev_i32_e32 v1, 31, v0
	s_lshl_b64 s[2:3], s[2:3], 3
	s_mul_i32 s0, s0, s7
	s_add_u32 s2, s10, s2
	s_addc_u32 s3, s11, s3
	s_lshl_b32 s0, s0, 1
	v_lshlrev_b64 v[0:1], 3, v[0:1]
	s_ashr_i32 s1, s0, 31
	s_lshl_b64 s[0:1], s[0:1], 3
	s_add_u32 s0, s14, s0
	s_addc_u32 s1, s15, s1
	v_add_co_u32 v2, vcc_lo, s0, v0
	v_add_co_ci_u32_e64 v3, null, s1, v1, vcc_lo
	v_add_co_u32 v0, vcc_lo, s2, v0
	v_add_co_ci_u32_e64 v1, null, s3, v1, vcc_lo
	global_load_dwordx2 v[2:3], v[2:3], off
	s_waitcnt vmcnt(0)
	v_xor_b32_e32 v3, 0x80000000, v3
	global_store_dwordx2 v[0:1], v[2:3], off
.LBB19_4:
	s_endpgm
	.section	.rodata,"a",@progbits
	.p2align	6, 0x0
	.amdhsa_kernel _ZN9rocsolver6v33100L15bdsvdx_abs_eigsIdEEviPiPT_lS4_
		.amdhsa_group_segment_fixed_size 0
		.amdhsa_private_segment_fixed_size 0
		.amdhsa_kernarg_size 296
		.amdhsa_user_sgpr_count 6
		.amdhsa_user_sgpr_private_segment_buffer 1
		.amdhsa_user_sgpr_dispatch_ptr 0
		.amdhsa_user_sgpr_queue_ptr 0
		.amdhsa_user_sgpr_kernarg_segment_ptr 1
		.amdhsa_user_sgpr_dispatch_id 0
		.amdhsa_user_sgpr_flat_scratch_init 0
		.amdhsa_user_sgpr_private_segment_size 0
		.amdhsa_wavefront_size32 1
		.amdhsa_uses_dynamic_stack 0
		.amdhsa_system_sgpr_private_segment_wavefront_offset 0
		.amdhsa_system_sgpr_workgroup_id_x 1
		.amdhsa_system_sgpr_workgroup_id_y 1
		.amdhsa_system_sgpr_workgroup_id_z 0
		.amdhsa_system_sgpr_workgroup_info 0
		.amdhsa_system_vgpr_workitem_id 0
		.amdhsa_next_free_vgpr 4
		.amdhsa_next_free_sgpr 16
		.amdhsa_reserve_vcc 1
		.amdhsa_reserve_flat_scratch 0
		.amdhsa_float_round_mode_32 0
		.amdhsa_float_round_mode_16_64 0
		.amdhsa_float_denorm_mode_32 3
		.amdhsa_float_denorm_mode_16_64 3
		.amdhsa_dx10_clamp 1
		.amdhsa_ieee_mode 1
		.amdhsa_fp16_overflow 0
		.amdhsa_workgroup_processor_mode 1
		.amdhsa_memory_ordered 1
		.amdhsa_forward_progress 1
		.amdhsa_shared_vgpr_count 0
		.amdhsa_exception_fp_ieee_invalid_op 0
		.amdhsa_exception_fp_denorm_src 0
		.amdhsa_exception_fp_ieee_div_zero 0
		.amdhsa_exception_fp_ieee_overflow 0
		.amdhsa_exception_fp_ieee_underflow 0
		.amdhsa_exception_fp_ieee_inexact 0
		.amdhsa_exception_int_div_zero 0
	.end_amdhsa_kernel
	.section	.text._ZN9rocsolver6v33100L15bdsvdx_abs_eigsIdEEviPiPT_lS4_,"axG",@progbits,_ZN9rocsolver6v33100L15bdsvdx_abs_eigsIdEEviPiPT_lS4_,comdat
.Lfunc_end19:
	.size	_ZN9rocsolver6v33100L15bdsvdx_abs_eigsIdEEviPiPT_lS4_, .Lfunc_end19-_ZN9rocsolver6v33100L15bdsvdx_abs_eigsIdEEviPiPT_lS4_
                                        ; -- End function
	.set _ZN9rocsolver6v33100L15bdsvdx_abs_eigsIdEEviPiPT_lS4_.num_vgpr, 4
	.set _ZN9rocsolver6v33100L15bdsvdx_abs_eigsIdEEviPiPT_lS4_.num_agpr, 0
	.set _ZN9rocsolver6v33100L15bdsvdx_abs_eigsIdEEviPiPT_lS4_.numbered_sgpr, 16
	.set _ZN9rocsolver6v33100L15bdsvdx_abs_eigsIdEEviPiPT_lS4_.num_named_barrier, 0
	.set _ZN9rocsolver6v33100L15bdsvdx_abs_eigsIdEEviPiPT_lS4_.private_seg_size, 0
	.set _ZN9rocsolver6v33100L15bdsvdx_abs_eigsIdEEviPiPT_lS4_.uses_vcc, 1
	.set _ZN9rocsolver6v33100L15bdsvdx_abs_eigsIdEEviPiPT_lS4_.uses_flat_scratch, 0
	.set _ZN9rocsolver6v33100L15bdsvdx_abs_eigsIdEEviPiPT_lS4_.has_dyn_sized_stack, 0
	.set _ZN9rocsolver6v33100L15bdsvdx_abs_eigsIdEEviPiPT_lS4_.has_recursion, 0
	.set _ZN9rocsolver6v33100L15bdsvdx_abs_eigsIdEEviPiPT_lS4_.has_indirect_call, 0
	.section	.AMDGPU.csdata,"",@progbits
; Kernel info:
; codeLenInByte = 256
; TotalNumSgprs: 18
; NumVgprs: 4
; ScratchSize: 0
; MemoryBound: 0
; FloatMode: 240
; IeeeMode: 1
; LDSByteSize: 0 bytes/workgroup (compile time only)
; SGPRBlocks: 0
; VGPRBlocks: 0
; NumSGPRsForWavesPerEU: 18
; NumVGPRsForWavesPerEU: 4
; Occupancy: 16
; WaveLimiterHint : 0
; COMPUTE_PGM_RSRC2:SCRATCH_EN: 0
; COMPUTE_PGM_RSRC2:USER_SGPR: 6
; COMPUTE_PGM_RSRC2:TRAP_HANDLER: 0
; COMPUTE_PGM_RSRC2:TGID_X_EN: 1
; COMPUTE_PGM_RSRC2:TGID_Y_EN: 1
; COMPUTE_PGM_RSRC2:TGID_Z_EN: 0
; COMPUTE_PGM_RSRC2:TIDIG_COMP_CNT: 0
	.section	.text._ZN9rocsolver6v33100L12stein_kernelIddPdEEviPT0_lS4_lPiS4_lS5_lS5_lT1_iilS5_lS5_S4_S5_S3_S3_,"axG",@progbits,_ZN9rocsolver6v33100L12stein_kernelIddPdEEviPT0_lS4_lPiS4_lS5_lS5_lT1_iilS5_lS5_S4_S5_S3_S3_,comdat
	.globl	_ZN9rocsolver6v33100L12stein_kernelIddPdEEviPT0_lS4_lPiS4_lS5_lS5_lT1_iilS5_lS5_S4_S5_S3_S3_ ; -- Begin function _ZN9rocsolver6v33100L12stein_kernelIddPdEEviPT0_lS4_lPiS4_lS5_lS5_lT1_iilS5_lS5_S4_S5_S3_S3_
	.p2align	8
	.type	_ZN9rocsolver6v33100L12stein_kernelIddPdEEviPT0_lS4_lPiS4_lS5_lS5_lT1_iilS5_lS5_S4_S5_S3_S3_,@function
_ZN9rocsolver6v33100L12stein_kernelIddPdEEviPT0_lS4_lPiS4_lS5_lS5_lT1_iilS5_lS5_S4_S5_S3_S3_: ; @_ZN9rocsolver6v33100L12stein_kernelIddPdEEviPT0_lS4_lPiS4_lS5_lS5_lT1_iilS5_lS5_S4_S5_S3_S3_
; %bb.0:
	s_load_dwordx16 s[36:51], s[4:5], 0x8
	s_mov_b32 s6, s7
	s_ashr_i32 s7, s7, 31
	s_lshl_b64 s[2:3], s[6:7], 2
	s_waitcnt lgkmcnt(0)
	s_add_u32 s0, s44, s2
	s_addc_u32 s1, s45, s3
	s_load_dword s44, s[0:1], 0x0
	s_waitcnt lgkmcnt(0)
	s_cmp_lt_i32 s44, 1
	s_cbranch_scc1 .LBB20_256
; %bb.1:
	s_load_dwordx16 s[8:23], s[4:5], 0x70
                                        ; implicit-def: $vgpr58 : SGPR spill to VGPR lane
	s_mov_b64 s[52:53], 0
	v_writelane_b32 v58, s2, 0
	v_writelane_b32 v58, s3, 1
	s_waitcnt lgkmcnt(0)
	s_cmp_eq_u64 s[10:11], 0
	s_cbranch_scc1 .LBB20_3
; %bb.2:
	s_mul_i32 s0, s12, s7
	s_mul_hi_u32 s1, s12, s6
	s_mul_i32 s2, s13, s6
	s_add_i32 s0, s1, s0
	s_add_i32 s1, s0, s2
	s_mul_i32 s0, s12, s6
	s_lshl_b64 s[0:1], s[0:1], 2
	s_add_u32 s52, s10, s0
	s_addc_u32 s53, s11, s1
.LBB20_3:
	v_cmp_eq_u32_e64 s0, 0, v0
	s_and_saveexec_b32 s1, s0
; %bb.4:
	v_mov_b32_e32 v1, 0
	ds_write_b32 v1, v1
; %bb.5:
	s_or_b32 exec_lo, exec_lo, s1
	v_cmp_gt_u32_e32 vcc_lo, s44, v0
	s_cmp_lg_u64 s[52:53], 0
	v_lshlrev_b32_e32 v45, 2, v0
	s_cselect_b32 s10, -1, 0
	s_and_b32 s1, vcc_lo, s10
	s_and_saveexec_b32 s2, s1
	s_cbranch_execz .LBB20_8
; %bb.6:
	v_add_co_u32 v1, s1, s52, v45
	v_mov_b32_e32 v3, 0
	v_add_co_ci_u32_e64 v2, null, s53, 0, s1
	v_mov_b32_e32 v4, v0
	s_mov_b32 s3, 0
.LBB20_7:                               ; =>This Inner Loop Header: Depth=1
	v_add_nc_u32_e32 v4, 0x100, v4
	global_store_dword v[1:2], v3, off
	v_add_co_u32 v1, s1, 0x400, v1
	v_add_co_ci_u32_e64 v2, null, 0, v2, s1
	v_cmp_le_i32_e32 vcc_lo, s44, v4
	s_or_b32 s3, vcc_lo, s3
	s_andn2_b32 exec_lo, exec_lo, s3
	s_cbranch_execnz .LBB20_7
.LBB20_8:
	s_or_b32 exec_lo, exec_lo, s2
	s_load_dwordx8 s[24:31], s[4:5], 0x48
	s_mov_b32 s11, 0
	v_mov_b32_e32 v1, 0
	s_mov_b32 s45, s11
	s_waitcnt lgkmcnt(0)
	s_mul_i32 s1, s24, s7
	s_mul_hi_u32 s2, s24, s6
	s_mul_i32 s3, s25, s6
	s_add_i32 s1, s2, s1
	s_mul_i32 s2, s24, s6
	s_add_i32 s3, s1, s3
	s_lshl_b64 s[2:3], s[2:3], 2
	s_add_u32 s33, s50, s2
	s_addc_u32 s104, s51, s3
	s_lshl_b64 s[2:3], s[44:45], 2
	s_add_u32 s2, s33, s2
	s_addc_u32 s3, s104, s3
	v_writelane_b32 v58, s2, 2
	global_load_dword v2, v1, s[2:3] offset:-4
	v_writelane_b32 v58, s3, 3
	s_waitcnt vmcnt(0)
	v_cmp_gt_i32_e32 vcc_lo, 1, v2
	s_cbranch_vccnz .LBB20_254
; %bb.9:
	v_div_scale_f64 v[7:8], null, s[22:23], s[22:23], 1.0
	s_load_dword s24, s[4:5], 0x0
	s_mul_i32 s3, s38, s7
	s_mul_hi_u32 s13, s38, s6
	s_mul_i32 s25, s39, s6
	s_mul_i32 s12, s38, s6
	;; [unrolled: 1-line block ×3, first 2 shown]
	s_mul_hi_u32 s39, s42, s6
	s_mul_i32 s34, s42, s6
	s_mul_i32 s50, s48, s7
	s_mul_hi_u32 s51, s48, s6
	s_mul_i32 s38, s48, s6
	s_mul_i32 s48, s28, s7
	;; [unrolled: 3-line block ×3, first 2 shown]
	s_load_dwordx2 s[28:29], s[4:5], 0x68
	s_add_i32 s4, s13, s3
	v_div_scale_f64 v[11:12], vcc_lo, 1.0, s[22:23], 1.0
	s_add_i32 s13, s4, s25
	v_rcp_f64_e32 v[3:4], v[7:8]
	s_lshl_b64 s[4:5], s[12:13], 3
	s_waitcnt lgkmcnt(0)
	s_ashr_i32 s25, s24, 31
	s_add_u32 s45, s36, s4
	s_mul_i32 s43, s43, s6
	s_addc_u32 vcc_hi, s37, s5
	s_add_i32 s4, s39, s35
	s_mul_i32 s49, s49, s6
	s_add_i32 s35, s4, s43
	s_mul_i32 s56, s8, s7
	s_lshl_b64 s[4:5], s[34:35], 3
	s_mul_i32 s36, s24, 5
	s_add_u32 s82, s40, s4
	s_addc_u32 s58, s41, s5
	s_add_i32 s4, s51, s50
	s_mul_hi_u32 s57, s8, s6
	s_add_i32 s39, s4, s49
	s_mul_i32 s9, s9, s6
	s_lshl_b64 s[12:13], s[38:39], 3
	s_mul_i32 s8, s8, s6
	s_add_u32 s60, s46, s12
	s_addc_u32 s61, s47, s13
	s_add_i32 s7, s54, s48
	s_mul_hi_i32 s5, s24, s6
	v_fma_f64 v[5:6], -v[7:8], v[3:4], 1.0
	s_add_i32 s43, s7, s55
	s_mul_i32 s4, s24, s6
	s_lshl_b64 s[34:35], s[42:43], 2
	s_mul_hi_i32 s7, s36, s6
	s_mul_i32 s6, s36, s6
	s_add_u32 s73, s26, s34
	s_addc_u32 s13, s27, s35
	s_lshl_b64 s[34:35], s[6:7], 3
	v_add_nc_u32_e32 v13, s24, v0
	s_add_u32 s36, s16, s34
	s_addc_u32 s37, s17, s35
	s_lshl_b64 s[4:5], s[4:5], 2
	s_mov_b32 s12, s28
	s_add_u32 s18, s18, s4
	s_addc_u32 s19, s19, s5
	s_add_i32 s5, s57, s56
	v_writelane_b32 v58, s13, 4
	s_add_i32 s9, s5, s9
	s_ashr_i32 s13, s28, 31
	s_lshl_b64 s[8:9], s[8:9], 3
	s_mul_i32 s50, s24, 3
	v_fma_f64 v[3:4], v[3:4], v[5:6], v[3:4]
	v_max_f64 v[5:6], s[20:21], s[20:21]
	s_add_u32 s5, s30, s8
	s_addc_u32 s26, s31, s9
	s_lshl_b64 s[8:9], s[12:13], 3
	v_ashrrev_i32_e32 v14, 31, v13
	s_add_u32 s28, s5, s8
	s_addc_u32 s26, s26, s9
	s_ashr_i32 s51, s50, 31
	v_lshlrev_b32_e32 v17, 3, v0
	s_lshl_b64 s[8:9], s[50:51], 3
	v_lshlrev_b64 v[13:14], 3, v[13:14]
	s_add_u32 s30, s36, s8
	s_addc_u32 s31, s37, s9
	s_lshl_b64 s[46:47], s[24:25], 4
	v_add_nc_u32_e32 v46, 8, v17
	s_sub_u32 s27, 0, s46
	s_subb_u32 s62, 0, s47
	s_add_u32 s38, s30, s27
	s_addc_u32 s39, s31, s62
	s_lshl_b64 s[48:49], s[24:25], 3
	v_cmp_gt_u32_e64 s1, 0x80, v0
	v_fma_f64 v[9:10], -v[7:8], v[3:4], 1.0
	s_add_u32 s40, s38, s48
	s_addc_u32 s41, s39, s49
	s_add_u32 s42, s40, s46
	s_addc_u32 s43, s41, s47
	s_and_b32 s63, s0, s10
	v_cmp_gt_u32_e64 s2, 64, v0
	v_cmp_gt_u32_e64 s3, 32, v0
	v_sub_nc_u32_e32 v47, v46, v45
	v_cmp_gt_i32_e64 s4, s24, v0
	v_mov_b32_e32 v48, 1
	v_mov_b32_e32 v49, 0x3ff00000
	;; [unrolled: 1-line block ×3, first 2 shown]
	s_mov_b32 s64, 0xff800000
	s_mov_b32 s65, 0x41dfffff
	;; [unrolled: 1-line block ×3, first 2 shown]
                                        ; implicit-def: $vgpr27_vgpr28
                                        ; implicit-def: $sgpr69
	v_fma_f64 v[9:10], v[3:4], v[9:10], v[3:4]
	v_max_f64 v[3:4], v[5:6], 0
	v_add_co_u32 v5, s5, s36, v17
	v_add_co_ci_u32_e64 v6, null, s37, 0, s5
	v_mul_f64 v[15:16], v[11:12], v[9:10]
	v_fma_f64 v[11:12], -v[7:8], v[15:16], v[11:12]
	v_add_co_u32 v7, s5, s36, v13
	v_add_co_ci_u32_e64 v8, null, s37, v14, s5
                                        ; implicit-def: $vgpr13_vgpr14
	v_add_co_u32 v7, s5, v7, 8
	v_add_co_ci_u32_e64 v8, null, 0, v8, s5
	s_add_u32 s5, s82, 8
	v_writelane_b32 v58, s5, 5
	s_addc_u32 s5, s58, 0
	v_writelane_b32 v58, s5, 6
	s_add_u32 s5, s45, 8
	v_writelane_b32 v58, s5, 7
	v_div_fmas_f64 v[11:12], v[11:12], v[9:10], v[15:16]
	s_addc_u32 s5, vcc_hi, 0
                                        ; implicit-def: $vgpr15_vgpr16
	v_writelane_b32 v58, s5, 8
	s_add_u32 s5, s34, s8
	s_addc_u32 s10, s35, s9
	s_add_u32 s13, s16, s5
	s_addc_u32 s34, s17, s10
	v_add_co_u32 v9, s8, s13, v17
	v_add_co_ci_u32_e64 v10, null, s34, 0, s8
	s_mov_b32 s8, s50
	s_lshl_b32 s12, s24, 1
	v_writelane_b32 v58, s8, 9
	s_sub_u32 s46, s5, s46
	s_subb_u32 s47, s10, s47
	s_add_u32 s6, s6, s50
	s_addc_u32 s7, s7, s51
	v_writelane_b32 v58, s9, 10
	s_add_u32 s8, s6, s24
	s_addc_u32 s9, s7, s25
	v_div_fixup_f64 v[11:12], v[11:12], s[22:23], 1.0
	s_lshl_b64 s[8:9], s[8:9], 3
	s_lshl_b64 s[6:7], s[6:7], 3
	v_writelane_b32 v58, s8, 11
	s_sub_u32 s50, s6, s48
	s_subb_u32 s51, s7, s49
	s_add_u32 s54, s5, 8
	s_addc_u32 s55, s10, 0
	v_writelane_b32 v58, s9, 12
	s_add_u32 s56, s13, 16
	s_mov_b32 s13, s58
	s_addc_u32 s57, s34, 0
	s_add_u32 s58, s36, 8
	v_writelane_b32 v58, s82, 13
	s_addc_u32 s59, s37, 0
	s_mov_b32 s25, 0
                                        ; implicit-def: $vgpr17_vgpr18
	v_writelane_b32 v58, s13, 14
	v_writelane_b32 v58, s73, 15
	s_branch .LBB20_12
.LBB20_10:                              ;   in Loop: Header=BB20_12 Depth=1
	v_readlane_b32 s6, v58, 2
	v_readlane_b32 s7, v58, 3
	;; [unrolled: 1-line block ×5, first 2 shown]
	s_mov_b32 s25, s10
	global_load_dword v2, v1, s[6:7] offset:-4
.LBB20_11:                              ;   in Loop: Header=BB20_12 Depth=1
	s_add_i32 s66, s66, 1
	s_waitcnt vmcnt(0)
	v_cmp_ge_i32_e32 vcc_lo, s66, v2
	s_cbranch_vccnz .LBB20_254
.LBB20_12:                              ; =>This Loop Header: Depth=1
                                        ;     Child Loop BB20_17 Depth 2
                                        ;     Child Loop BB20_22 Depth 2
                                        ;       Child Loop BB20_32 Depth 3
                                        ;       Child Loop BB20_35 Depth 3
	;; [unrolled: 1-line block ×4, first 2 shown]
                                        ;         Child Loop BB20_69 Depth 4
                                        ;         Child Loop BB20_108 Depth 4
	;; [unrolled: 1-line block ×5, first 2 shown]
                                        ;           Child Loop BB20_127 Depth 5
                                        ;         Child Loop BB20_141 Depth 4
                                        ;           Child Loop BB20_142 Depth 5
                                        ;           Child Loop BB20_144 Depth 5
                                        ;         Child Loop BB20_149 Depth 4
                                        ;       Child Loop BB20_192 Depth 3
                                        ;       Child Loop BB20_231 Depth 3
	;; [unrolled: 1-line block ×4, first 2 shown]
	v_readlane_b32 s5, v58, 4
	s_mov_b32 s68, 0
	s_cmp_eq_u32 s66, 0
	s_mov_b64 s[6:7], 0
	s_cbranch_scc1 .LBB20_14
; %bb.13:                               ;   in Loop: Header=BB20_12 Depth=1
	s_mov_b32 s67, s11
	s_lshl_b64 s[6:7], s[66:67], 2
	s_add_u32 s6, s73, s6
	s_addc_u32 s7, s5, s7
	global_load_dword v19, v1, s[6:7] offset:-4
	s_mov_b64 s[6:7], s[66:67]
	s_waitcnt vmcnt(0)
	v_readfirstlane_b32 s68, v19
.LBB20_14:                              ;   in Loop: Header=BB20_12 Depth=1
	s_lshl_b64 s[6:7], s[6:7], 2
	s_add_u32 s6, s73, s6
	s_addc_u32 s7, s5, s7
	s_not_b32 s5, s68
	global_load_dword v19, v1, s[6:7]
	s_waitcnt vmcnt(0)
	v_readfirstlane_b32 s70, v19
	v_subrev_nc_u32_e32 v51, s68, v19
	s_add_i32 s72, s5, s70
	s_cmp_lt_i32 s72, 1
	s_cselect_b32 s67, -1, 0
	s_and_b32 vcc_lo, exec_lo, s67
	s_cbranch_vccnz .LBB20_19
; %bb.15:                               ;   in Loop: Header=BB20_12 Depth=1
	s_ashr_i32 s69, s68, 31
	s_lshl_b64 s[8:9], s[68:69], 3
	s_add_u32 s6, s45, s8
	s_addc_u32 s7, vcc_hi, s9
	s_add_u32 s34, s82, s8
	s_addc_u32 s35, s13, s9
	s_ashr_i32 s71, s70, 31
	s_lshl_b64 s[48:49], s[70:71], 3
	s_add_u32 s74, s45, s48
	s_addc_u32 s75, vcc_hi, s49
	s_add_i32 s5, s70, -2
	s_add_u32 s48, s82, s48
	s_addc_u32 s49, s13, s49
	s_clause 0x3
	global_load_dwordx2 v[13:14], v1, s[6:7]
	global_load_dwordx2 v[15:16], v1, s[34:35]
	global_load_dwordx2 v[17:18], v1, s[74:75] offset:-8
	global_load_dwordx2 v[19:20], v1, s[48:49] offset:-16
	s_cmp_ge_i32 s68, s5
	s_waitcnt vmcnt(2)
	v_add_f64 v[13:14], |v[13:14]|, |v[15:16]|
	s_waitcnt vmcnt(0)
	v_add_f64 v[17:18], |v[17:18]|, |v[19:20]|
	v_cmp_lt_f64_e32 vcc_lo, v[13:14], v[17:18]
	v_cndmask_b32_e32 v14, v14, v18, vcc_lo
	v_cndmask_b32_e32 v13, v13, v17, vcc_lo
	s_cbranch_scc1 .LBB20_18
; %bb.16:                               ;   in Loop: Header=BB20_12 Depth=1
	v_readlane_b32 s6, v58, 5
	v_readlane_b32 s7, v58, 6
	;; [unrolled: 1-line block ×3, first 2 shown]
	s_add_u32 s6, s6, s8
	s_addc_u32 s7, s7, s9
	s_add_u32 s8, s10, s8
	v_readlane_b32 s10, v58, 8
	s_addc_u32 s9, s10, s9
	s_mov_b32 s10, s68
	.p2align	6
.LBB20_17:                              ;   Parent Loop BB20_12 Depth=1
                                        ; =>  This Inner Loop Header: Depth=2
	global_load_dwordx2 v[17:18], v1, s[8:9]
	s_add_i32 s10, s10, 1
	s_waitcnt vmcnt(0)
	v_add_f64 v[17:18], |v[15:16]|, |v[17:18]|
	global_load_dwordx2 v[15:16], v1, s[6:7]
	s_add_u32 s6, s6, 8
	s_addc_u32 s7, s7, 0
	s_add_u32 s8, s8, 8
	s_addc_u32 s9, s9, 0
	s_cmp_lt_i32 s10, s5
	s_waitcnt vmcnt(0)
	v_add_f64 v[17:18], v[17:18], |v[15:16]|
	v_cmp_lt_f64_e32 vcc_lo, v[13:14], v[17:18]
	v_cndmask_b32_e32 v14, v14, v18, vcc_lo
	v_cndmask_b32_e32 v13, v13, v17, vcc_lo
	s_cbranch_scc1 .LBB20_17
.LBB20_18:                              ;   in Loop: Header=BB20_12 Depth=1
	v_cvt_f64_u32_e32 v[15:16], v51
	s_mov_b32 s6, 0x9999999a
	s_mov_b32 s7, 0x3fb99999
	;; [unrolled: 1-line block ×3, first 2 shown]
	v_div_scale_f64 v[17:18], null, v[15:16], v[15:16], s[6:7]
	v_div_scale_f64 v[23:24], vcc_lo, s[6:7], v[15:16], s[6:7]
	v_rcp_f64_e32 v[19:20], v[17:18]
	v_fma_f64 v[21:22], -v[17:18], v[19:20], 1.0
	v_fma_f64 v[19:20], v[19:20], v[21:22], v[19:20]
	v_fma_f64 v[21:22], -v[17:18], v[19:20], 1.0
	v_fma_f64 v[19:20], v[19:20], v[21:22], v[19:20]
	v_mul_f64 v[21:22], v[23:24], v[19:20]
	v_fma_f64 v[17:18], -v[17:18], v[21:22], v[23:24]
	v_div_fmas_f64 v[17:18], v[17:18], v[19:20], v[21:22]
	v_div_fixup_f64 v[15:16], v[17:18], v[15:16], s[6:7]
	s_mov_b32 s6, 0xd2f1a9fc
	s_mov_b32 s7, 0x3f50624d
	v_cmp_gt_f64_e32 vcc_lo, 0x10000000, v[15:16]
	s_and_b32 s5, vcc_lo, exec_lo
	s_cselect_b32 s5, 0x100, 0
	v_ldexp_f64 v[15:16], v[15:16], s5
	s_cselect_b32 s5, 0xffffff80, 0
	v_rsq_f64_e32 v[17:18], v[15:16]
	v_cmp_class_f64_e64 vcc_lo, v[15:16], 0x260
	v_mul_f64 v[19:20], v[15:16], v[17:18]
	v_mul_f64 v[17:18], v[17:18], 0.5
	v_fma_f64 v[21:22], -v[17:18], v[19:20], 0.5
	v_fma_f64 v[19:20], v[19:20], v[21:22], v[19:20]
	v_fma_f64 v[17:18], v[17:18], v[21:22], v[17:18]
	v_fma_f64 v[21:22], -v[19:20], v[19:20], v[15:16]
	v_fma_f64 v[19:20], v[21:22], v[17:18], v[19:20]
	v_fma_f64 v[21:22], -v[19:20], v[19:20], v[15:16]
	v_fma_f64 v[17:18], v[21:22], v[17:18], v[19:20]
	v_ldexp_f64 v[19:20], v[17:18], s5
	v_mul_f64 v[17:18], v[13:14], s[6:7]
	v_cndmask_b32_e32 v16, v20, v16, vcc_lo
	v_cndmask_b32_e32 v15, v19, v15, vcc_lo
.LBB20_19:                              ;   in Loop: Header=BB20_12 Depth=1
	s_cmp_ge_i32 s25, s44
	s_cbranch_scc1 .LBB20_11
; %bb.20:                               ;   in Loop: Header=BB20_12 Depth=1
	v_cvt_f64_u32_e32 v[19:20], v51
	s_ashr_i32 s71, s70, 31
	v_add_nc_u32_e32 v21, s68, v0
	s_lshl_b64 s[6:7], s[70:71], 3
	s_mov_b32 s73, s11
	s_add_u32 s74, s45, s6
	s_addc_u32 s75, vcc_hi, s7
	v_readlane_b32 s6, v58, 9
	v_ashrrev_i32_e32 v22, 31, v21
	v_readlane_b32 s7, v58, 10
	v_cmp_ge_i32_e64 s5, s72, v0
	s_mov_b32 s34, 0
	s_add_i32 s6, s72, s6
	v_lshlrev_b64 v[23:24], 3, v[21:22]
	s_ashr_i32 s7, s6, 31
	s_mul_i32 s35, s29, s25
	s_lshl_b64 s[6:7], s[6:7], 3
	s_add_u32 s76, s36, s6
	s_addc_u32 s77, s37, s7
	s_lshl_b64 s[8:9], s[72:73], 2
	v_add_co_u32 v21, vcc_lo, s45, v23
	v_mul_f64 v[19:20], v[13:14], v[19:20]
	s_add_u32 s78, s18, s8
	s_addc_u32 s79, s19, s9
	s_lshl_b64 s[8:9], s[72:73], 3
	v_add_co_ci_u32_e64 v22, null, vcc_hi, v24, vcc_lo
	v_add_co_u32 v23, vcc_lo, s82, v23
	s_add_i32 s71, s72, -1
	v_cmp_gt_i32_e64 s6, s72, v0
	s_add_u32 s80, s30, s8
	v_cmp_lt_u32_e64 s7, 2, v51
	v_cmp_lt_u32_e64 s8, v0, v51
	v_add_co_ci_u32_e64 v24, null, s13, v24, vcc_lo
	s_addc_u32 s81, s31, s9
	s_sub_i32 s73, s70, s68
	s_sub_i32 s13, 0, s68
	s_mov_b32 s82, s25
	s_branch .LBB20_22
.LBB20_21:                              ;   in Loop: Header=BB20_22 Depth=2
	s_mov_b32 s10, s82
                                        ; implicit-def: $sgpr34
                                        ; implicit-def: $sgpr35
	s_and_b32 vcc_lo, exec_lo, s9
	s_cbranch_vccnz .LBB20_10
.LBB20_22:                              ;   Parent Loop BB20_12 Depth=1
                                        ; =>  This Loop Header: Depth=2
                                        ;       Child Loop BB20_32 Depth 3
                                        ;       Child Loop BB20_35 Depth 3
	;; [unrolled: 1-line block ×4, first 2 shown]
                                        ;         Child Loop BB20_69 Depth 4
                                        ;         Child Loop BB20_108 Depth 4
	;; [unrolled: 1-line block ×5, first 2 shown]
                                        ;           Child Loop BB20_127 Depth 5
                                        ;         Child Loop BB20_141 Depth 4
                                        ;           Child Loop BB20_142 Depth 5
                                        ;           Child Loop BB20_144 Depth 5
                                        ;         Child Loop BB20_149 Depth 4
                                        ;       Child Loop BB20_192 Depth 3
                                        ;       Child Loop BB20_231 Depth 3
	;; [unrolled: 1-line block ×4, first 2 shown]
	s_ashr_i32 s83, s82, 31
	s_mov_b32 s9, -1
	s_lshl_b64 s[48:49], s[82:83], 2
	s_add_u32 s48, s33, s48
	s_addc_u32 s49, s104, s49
	global_load_dword v2, v1, s[48:49]
	s_waitcnt vmcnt(0)
	v_add_nc_u32_e32 v2, -1, v2
	v_cmp_ne_u32_e32 vcc_lo, s66, v2
	s_cbranch_vccnz .LBB20_21
; %bb.23:                               ;   in Loop: Header=BB20_22 Depth=2
	s_lshl_b64 s[48:49], s[82:83], 3
	s_add_u32 s48, s60, s48
	s_addc_u32 s49, s61, s49
	s_and_b32 vcc_lo, exec_lo, s67
	global_load_dwordx2 v[25:26], v1, s[48:49]
	s_cbranch_vccz .LBB20_27
; %bb.24:                               ;   in Loop: Header=BB20_22 Depth=2
	s_and_saveexec_b32 s9, s0
	s_cbranch_execz .LBB20_26
; %bb.25:                               ;   in Loop: Header=BB20_22 Depth=2
	v_mov_b32_e32 v2, v49
	global_store_dwordx2 v1, v[1:2], s[36:37]
.LBB20_26:                              ;   in Loop: Header=BB20_22 Depth=2
	s_or_b32 exec_lo, exec_lo, s9
	s_waitcnt vmcnt(0)
	s_waitcnt_vscnt null, 0x0
	s_mov_b32 s9, 0
	s_barrier
.LBB20_27:                              ;   in Loop: Header=BB20_22 Depth=2
	s_and_b32 vcc_lo, exec_lo, s9
	s_cbranch_vccz .LBB20_62
; %bb.28:                               ;   in Loop: Header=BB20_22 Depth=2
	s_cmp_lg_u32 s34, 0
	s_cselect_b32 s83, -1, 0
	s_cmp_eq_u32 s34, 0
	s_cbranch_scc1 .LBB20_30
; %bb.29:                               ;   in Loop: Header=BB20_22 Depth=2
	s_waitcnt vmcnt(0)
	v_mul_f64 v[29:30], s[20:21], v[25:26]
	v_add_f64 v[33:34], v[25:26], -v[27:28]
	v_mul_f64 v[31:32], 0x40240000, |v[29:30]|
	v_fma_f64 v[29:30], 0x40240000, |v[29:30]|, v[27:28]
	v_cmp_lt_f64_e32 vcc_lo, v[33:34], v[31:32]
	v_cndmask_b32_e32 v26, v26, v30, vcc_lo
	v_cndmask_b32_e32 v25, v25, v29, vcc_lo
.LBB20_30:                              ;   in Loop: Header=BB20_22 Depth=2
	s_and_saveexec_b32 s10, s5
	s_cbranch_execz .LBB20_33
; %bb.31:                               ;   in Loop: Header=BB20_22 Depth=2
	s_mul_i32 s9, s66, s44
	s_mov_b32 s48, 0
	s_add_i32 s9, s82, s9
	v_lshl_or_b32 v2, s9, 8, v0
	v_add_nc_u32_e32 v29, 1, v2
	v_sub_nc_u32_e32 v32, 0x7ffffffe, v2
	v_mul_hi_i32 v30, 0x40000001, v29
	v_cmp_gt_u32_e32 vcc_lo, 0x7fffff07, v32
	v_lshrrev_b32_e32 v31, 31, v30
	v_ashrrev_i32_e32 v30, 29, v30
	v_add_nc_u32_e32 v30, v30, v31
	v_sub_nc_u32_e32 v31, 0xf7, v2
	v_mul_lo_u32 v30, 0x7fffffff, v30
	v_max_u32_e32 v31, 1, v31
	v_cndmask_b32_e32 v31, v31, v32, vcc_lo
	v_cmp_ne_u32_e32 vcc_lo, 0x7ffffffe, v2
	v_sub_nc_u32_e32 v32, v29, v30
	v_mov_b32_e32 v30, v6
	v_mov_b32_e32 v29, v5
	;; [unrolled: 1-line block ×3, first 2 shown]
	v_cndmask_b32_e32 v31, 1, v31, vcc_lo
	v_max_i32_e32 v32, 1, v32
.LBB20_32:                              ;   Parent Loop BB20_12 Depth=1
                                        ;     Parent Loop BB20_22 Depth=2
                                        ; =>    This Inner Loop Header: Depth=3
	v_mul_hi_i32 v33, 0x5e4789c9, v32
	v_mul_hi_i32 v34, 0x4f7a09cd, v31
	v_add_nc_u32_e32 v2, 0x100, v2
	v_lshrrev_b32_e32 v35, 31, v33
	v_ashrrev_i32_e32 v33, 14, v33
	v_lshrrev_b32_e32 v36, 31, v34
	v_ashrrev_i32_e32 v34, 14, v34
	v_add_nc_u32_e32 v33, v33, v35
	v_add_nc_u32_e32 v34, v34, v36
	v_mul_i32_i24_e32 v35, 0xadc8, v33
	v_mul_i32_i24_e32 v36, 0xce26, v34
	v_sub_nc_u32_e32 v32, v32, v35
	v_sub_nc_u32_e32 v31, v31, v36
	v_mul_lo_u32 v32, 0xbc8f, v32
	v_mul_lo_u32 v31, 0x9ef4, v31
	v_mad_i32_i24 v32, 0xfffff2b9, v33, v32
	v_mad_i32_i24 v31, 0xfffff131, v34, v31
	v_ashrrev_i32_e32 v33, 31, v32
	v_ashrrev_i32_e32 v34, 31, v31
	v_and_b32_e32 v33, 0x7fffffff, v33
	v_and_b32_e32 v34, 0x7fffff07, v34
	v_add_nc_u32_e32 v32, v33, v32
	v_add_nc_u32_e32 v31, v34, v31
	v_sub_nc_u32_e32 v33, v32, v31
	v_ashrrev_i32_e32 v34, 31, v33
	v_and_b32_e32 v34, 0x7fffffff, v34
	v_add_nc_u32_e32 v33, v34, v33
	v_cvt_f64_i32_e32 v[33:34], v33
	v_div_scale_f64 v[35:36], null, s[64:65], s[64:65], v[33:34]
	v_div_scale_f64 v[41:42], vcc_lo, v[33:34], s[64:65], v[33:34]
	v_rcp_f64_e32 v[37:38], v[35:36]
	v_fma_f64 v[39:40], -v[35:36], v[37:38], 1.0
	v_fma_f64 v[37:38], v[37:38], v[39:40], v[37:38]
	v_fma_f64 v[39:40], -v[35:36], v[37:38], 1.0
	v_fma_f64 v[37:38], v[37:38], v[39:40], v[37:38]
	v_mul_f64 v[39:40], v[41:42], v[37:38]
	v_fma_f64 v[35:36], -v[35:36], v[39:40], v[41:42]
	v_div_fmas_f64 v[35:36], v[35:36], v[37:38], v[39:40]
	v_cmp_lt_i32_e32 vcc_lo, s72, v2
	s_or_b32 s48, vcc_lo, s48
	v_div_fixup_f64 v[33:34], v[35:36], s[64:65], v[33:34]
	global_store_dwordx2 v[29:30], v[33:34], off
	v_add_co_u32 v29, s9, 0x800, v29
	v_add_co_ci_u32_e64 v30, null, 0, v30, s9
	s_andn2_b32 exec_lo, exec_lo, s48
	s_cbranch_execnz .LBB20_32
.LBB20_33:                              ;   in Loop: Header=BB20_22 Depth=2
	s_or_b32 exec_lo, exec_lo, s10
	s_and_saveexec_b32 s10, s6
	s_cbranch_execz .LBB20_36
; %bb.34:                               ;   in Loop: Header=BB20_22 Depth=2
	v_mov_b32_e32 v30, v24
	v_mov_b32_e32 v32, v22
	;; [unrolled: 1-line block ×9, first 2 shown]
	s_mov_b32 s48, 0
	s_inst_prefetch 0x1
	.p2align	6
.LBB20_35:                              ;   Parent Loop BB20_12 Depth=1
                                        ;     Parent Loop BB20_22 Depth=2
                                        ; =>    This Inner Loop Header: Depth=3
	global_load_dwordx2 v[37:38], v[31:32], off
	v_add_nc_u32_e32 v39, s12, v2
	v_add_nc_u32_e32 v2, 0x100, v2
	v_add_co_u32 v31, vcc_lo, 0x800, v31
	v_add_co_ci_u32_e64 v32, null, 0, v32, vcc_lo
	v_ashrrev_i32_e32 v40, 31, v39
	v_cmp_le_i32_e32 vcc_lo, s72, v2
	v_lshlrev_b64 v[39:40], 3, v[39:40]
	s_or_b32 s48, vcc_lo, s48
	v_add_co_u32 v39, s9, s36, v39
	v_add_co_ci_u32_e64 v40, null, s37, v40, s9
	s_waitcnt vmcnt(0)
	global_store_dwordx2 v[35:36], v[37:38], off
	global_load_dwordx2 v[37:38], v[29:30], off
	v_add_co_u32 v35, s9, 0x800, v35
	v_add_co_ci_u32_e64 v36, null, 0, v36, s9
	v_add_co_u32 v29, s9, 0x800, v29
	v_add_co_ci_u32_e64 v30, null, 0, v30, s9
	s_waitcnt vmcnt(0)
	global_store_dwordx2 v[39:40], v[37:38], off
	global_store_dwordx2 v[33:34], v[37:38], off
	v_add_co_u32 v33, s9, 0x800, v33
	v_add_co_ci_u32_e64 v34, null, 0, v34, s9
	s_andn2_b32 exec_lo, exec_lo, s48
	s_cbranch_execnz .LBB20_35
.LBB20_36:                              ;   in Loop: Header=BB20_22 Depth=2
	s_inst_prefetch 0x2
	s_or_b32 exec_lo, exec_lo, s10
	s_and_saveexec_b32 s9, s0
	s_cbranch_execz .LBB20_38
; %bb.37:                               ;   in Loop: Header=BB20_22 Depth=2
	global_load_dwordx2 v[29:30], v1, s[74:75] offset:-8
	s_waitcnt vmcnt(0)
	global_store_dwordx2 v1, v[29:30], s[76:77]
.LBB20_38:                              ;   in Loop: Header=BB20_22 Depth=2
	s_or_b32 exec_lo, exec_lo, s9
	s_waitcnt vmcnt(0)
	s_waitcnt_vscnt null, 0x0
	s_barrier
	buffer_gl0_inv
	s_and_saveexec_b32 s9, s0
	s_cbranch_execz .LBB20_66
; %bb.39:                               ;   in Loop: Header=BB20_22 Depth=2
	global_load_dwordx2 v[29:30], v1, s[30:31]
	v_readlane_b32 s90, v58, 11
	v_readlane_b32 s91, v58, 12
	s_mov_b32 s10, 1
	s_mov_b64 s[84:85], s[54:55]
	s_mov_b64 s[86:87], s[50:51]
	;; [unrolled: 1-line block ×4, first 2 shown]
	global_store_dword v1, v1, s[78:79]
	s_waitcnt vmcnt(0)
	v_add_f64 v[29:30], v[29:30], -v[25:26]
	global_store_dwordx2 v1, v[29:30], s[30:31]
	global_load_dwordx2 v[31:32], v1, s[38:39] offset:8
	s_waitcnt vmcnt(0)
	v_add_f64 v[29:30], |v[29:30]|, |v[31:32]|
	s_branch .LBB20_41
.LBB20_40:                              ;   in Loop: Header=BB20_41 Depth=3
	s_add_u32 s92, s92, 8
	s_addc_u32 s93, s93, 0
	s_add_u32 s90, s90, 8
	s_addc_u32 s91, s91, 0
	;; [unrolled: 2-line block ×4, first 2 shown]
	s_add_i32 s10, s10, 1
	s_add_u32 s84, s84, 8
	s_addc_u32 s85, s85, 0
	s_cmp_eq_u32 s73, s10
	s_cbranch_scc1 .LBB20_63
.LBB20_41:                              ;   Parent Loop BB20_12 Depth=1
                                        ;     Parent Loop BB20_22 Depth=2
                                        ; =>    This Inner Loop Header: Depth=3
	s_add_i32 s49, s10, -1
	s_add_u32 s96, s16, s84
	s_addc_u32 s97, s17, s85
	s_add_u32 s94, s16, s86
	global_load_dwordx2 v[31:32], v1, s[96:97]
	s_addc_u32 s95, s17, s87
	s_cmp_lt_u32 s49, s71
	s_cselect_b32 s48, -1, 0
	s_cmp_ge_u32 s49, s71
	s_waitcnt vmcnt(0)
	v_add_f64 v[35:36], v[31:32], -v[25:26]
	global_store_dwordx2 v1, v[35:36], s[96:97]
	global_load_dwordx2 v[39:40], v1, s[94:95]
	s_waitcnt vmcnt(0)
	v_add_f64 v[31:32], |v[35:36]|, |v[39:40]|
	s_cbranch_scc1 .LBB20_43
; %bb.42:                               ;   in Loop: Header=BB20_41 Depth=3
	s_add_u32 s98, s16, s92
	s_addc_u32 s99, s17, s93
	global_load_dwordx2 v[33:34], v1, s[98:99] offset:16
	s_waitcnt vmcnt(0)
	v_add_f64 v[31:32], v[31:32], |v[33:34]|
.LBB20_43:                              ;   in Loop: Header=BB20_41 Depth=3
	global_load_dwordx2 v[41:42], v1, s[96:97] offset:-8
	s_waitcnt vmcnt(0)
	v_cmp_eq_f64_e32 vcc_lo, 0, v[41:42]
	s_cbranch_vccnz .LBB20_54
; %bb.44:                               ;   in Loop: Header=BB20_41 Depth=3
	v_and_b32_e32 v34, 0x7fffffff, v42
	v_mov_b32_e32 v33, v41
	v_div_scale_f64 v[37:38], null, v[29:30], v[29:30], v[33:34]
	v_div_scale_f64 v[33:34], vcc_lo, v[33:34], v[29:30], v[33:34]
	v_rcp_f64_e32 v[43:44], v[37:38]
	v_fma_f64 v[52:53], -v[37:38], v[43:44], 1.0
	v_fma_f64 v[43:44], v[43:44], v[52:53], v[43:44]
	v_fma_f64 v[52:53], -v[37:38], v[43:44], 1.0
	v_fma_f64 v[43:44], v[43:44], v[52:53], v[43:44]
	v_mul_f64 v[52:53], v[33:34], v[43:44]
	v_fma_f64 v[33:34], -v[37:38], v[52:53], v[33:34]
	v_div_fmas_f64 v[33:34], v[33:34], v[43:44], v[52:53]
	v_div_fixup_f64 v[33:34], v[33:34], v[29:30], |v[41:42]|
	v_cmp_neq_f64_e32 vcc_lo, 0, v[39:40]
	s_cbranch_vccz .LBB20_55
.LBB20_45:                              ;   in Loop: Header=BB20_41 Depth=3
	v_and_b32_e32 v38, 0x7fffffff, v40
	v_mov_b32_e32 v37, v39
	s_mov_b32 s49, -1
	v_div_scale_f64 v[43:44], null, v[31:32], v[31:32], v[37:38]
	v_div_scale_f64 v[37:38], vcc_lo, v[37:38], v[31:32], v[37:38]
	v_rcp_f64_e32 v[52:53], v[43:44]
	v_fma_f64 v[54:55], -v[43:44], v[52:53], 1.0
	v_fma_f64 v[52:53], v[52:53], v[54:55], v[52:53]
	v_fma_f64 v[54:55], -v[43:44], v[52:53], 1.0
	v_fma_f64 v[52:53], v[52:53], v[54:55], v[52:53]
	v_mul_f64 v[54:55], v[37:38], v[52:53]
	v_fma_f64 v[37:38], -v[43:44], v[54:55], v[37:38]
	v_div_fmas_f64 v[37:38], v[37:38], v[52:53], v[54:55]
	v_div_fixup_f64 v[37:38], v[37:38], v[31:32], |v[39:40]|
	v_cmp_nle_f64_e32 vcc_lo, v[37:38], v[33:34]
	s_cbranch_vccnz .LBB20_49
; %bb.46:                               ;   in Loop: Header=BB20_41 Depth=3
	v_div_scale_f64 v[43:44], null, v[41:42], v[41:42], v[39:40]
	s_add_u32 s98, s16, s92
	s_addc_u32 s99, s17, s93
	v_rcp_f64_e32 v[52:53], v[43:44]
	v_fma_f64 v[54:55], -v[43:44], v[52:53], 1.0
	v_fma_f64 v[52:53], v[52:53], v[54:55], v[52:53]
	v_fma_f64 v[54:55], -v[43:44], v[52:53], 1.0
	v_fma_f64 v[52:53], v[52:53], v[54:55], v[52:53]
	v_div_scale_f64 v[54:55], vcc_lo, v[39:40], v[41:42], v[39:40]
	v_mul_f64 v[56:57], v[54:55], v[52:53]
	v_fma_f64 v[43:44], -v[43:44], v[56:57], v[54:55]
	v_div_fmas_f64 v[43:44], v[43:44], v[52:53], v[56:57]
	s_andn2_b32 vcc_lo, exec_lo, s48
	v_div_fixup_f64 v[43:44], v[43:44], v[41:42], v[39:40]
	global_store_dwordx2 v1, v[43:44], s[94:95]
	s_clause 0x1
	global_load_dwordx2 v[52:53], v1, s[96:97]
	global_load_dwordx2 v[54:55], v1, s[98:99] offset:8
	s_waitcnt vmcnt(0)
	v_fma_f64 v[43:44], -v[43:44], v[54:55], v[52:53]
	global_store_dwordx2 v1, v[43:44], s[96:97]
	global_store_dword v1, v1, s[88:89]
	s_cbranch_vccnz .LBB20_48
; %bb.47:                               ;   in Loop: Header=BB20_41 Depth=3
	v_mov_b32_e32 v2, v1
	s_add_u32 s98, s16, s90
	s_addc_u32 s99, s17, s91
	global_store_dwordx2 v1, v[1:2], s[98:99]
.LBB20_48:                              ;   in Loop: Header=BB20_41 Depth=3
	s_mov_b32 s49, 0
.LBB20_49:                              ;   in Loop: Header=BB20_41 Depth=3
	v_mov_b32_e32 v44, v32
	v_mov_b32_e32 v43, v31
	s_andn2_b32 vcc_lo, exec_lo, s49
	s_cbranch_vccnz .LBB20_53
; %bb.50:                               ;   in Loop: Header=BB20_41 Depth=3
	v_div_scale_f64 v[43:44], null, v[39:40], v[39:40], v[41:42]
	s_add_u32 s98, s16, s92
	s_addc_u32 s99, s17, s93
	global_store_dwordx2 v1, v[39:40], s[96:97] offset:-8
	v_rcp_f64_e32 v[52:53], v[43:44]
	v_fma_f64 v[54:55], -v[43:44], v[52:53], 1.0
	v_fma_f64 v[52:53], v[52:53], v[54:55], v[52:53]
	v_fma_f64 v[54:55], -v[43:44], v[52:53], 1.0
	v_fma_f64 v[52:53], v[52:53], v[54:55], v[52:53]
	v_div_scale_f64 v[54:55], vcc_lo, v[41:42], v[39:40], v[41:42]
	v_mul_f64 v[56:57], v[54:55], v[52:53]
	v_fma_f64 v[43:44], -v[43:44], v[56:57], v[54:55]
	v_div_fmas_f64 v[43:44], v[43:44], v[52:53], v[56:57]
	s_andn2_b32 vcc_lo, exec_lo, s48
	v_div_fixup_f64 v[39:40], v[43:44], v[39:40], v[41:42]
	global_load_dwordx2 v[41:42], v1, s[98:99] offset:8
	s_waitcnt vmcnt(0)
	v_fma_f64 v[41:42], -v[35:36], v[39:40], v[41:42]
	global_store_dwordx2 v1, v[41:42], s[96:97]
	global_store_dword v1, v48, s[88:89]
	s_cbranch_vccnz .LBB20_52
; %bb.51:                               ;   in Loop: Header=BB20_41 Depth=3
	global_load_dwordx2 v[41:42], v1, s[98:99] offset:16
	s_add_u32 s96, s16, s90
	s_addc_u32 s97, s17, s91
	s_waitcnt vmcnt(0)
	v_mul_f64 v[43:44], v[41:42], -v[39:40]
	global_store_dwordx2 v1, v[41:42], s[96:97]
	global_store_dwordx2 v1, v[43:44], s[98:99] offset:16
.LBB20_52:                              ;   in Loop: Header=BB20_41 Depth=3
	v_mov_b32_e32 v44, v30
	v_mov_b32_e32 v43, v29
	global_store_dwordx2 v1, v[35:36], s[98:99] offset:8
	global_store_dwordx2 v1, v[39:40], s[94:95]
.LBB20_53:                              ;   in Loop: Header=BB20_41 Depth=3
	v_mov_b32_e32 v29, v43
	v_mov_b32_e32 v30, v44
	s_cbranch_execz .LBB20_56
	s_branch .LBB20_59
.LBB20_54:                              ;   in Loop: Header=BB20_41 Depth=3
	v_mov_b32_e32 v33, 0
	v_mov_b32_e32 v34, 0
	v_cmp_neq_f64_e32 vcc_lo, 0, v[39:40]
	s_cbranch_vccnz .LBB20_45
.LBB20_55:                              ;   in Loop: Header=BB20_41 Depth=3
                                        ; implicit-def: $vgpr37_vgpr38
                                        ; implicit-def: $vgpr29_vgpr30
.LBB20_56:                              ;   in Loop: Header=BB20_41 Depth=3
	s_andn2_b32 vcc_lo, exec_lo, s48
	global_store_dword v1, v1, s[88:89]
	s_cbranch_vccnz .LBB20_58
; %bb.57:                               ;   in Loop: Header=BB20_41 Depth=3
	v_mov_b32_e32 v2, v1
	s_add_u32 s48, s16, s90
	s_addc_u32 s49, s17, s91
	global_store_dwordx2 v1, v[1:2], s[48:49]
.LBB20_58:                              ;   in Loop: Header=BB20_41 Depth=3
	v_mov_b32_e32 v37, 0
	v_mov_b32_e32 v29, v31
	;; [unrolled: 1-line block ×4, first 2 shown]
.LBB20_59:                              ;   in Loop: Header=BB20_41 Depth=3
	v_max_f64 v[31:32], v[37:38], v[37:38]
	v_max_f64 v[33:34], v[33:34], v[33:34]
	;; [unrolled: 1-line block ×3, first 2 shown]
	v_cmp_nle_f64_e32 vcc_lo, v[31:32], v[3:4]
	s_cbranch_vccnz .LBB20_40
; %bb.60:                               ;   in Loop: Header=BB20_41 Depth=3
	global_load_dword v2, v1, s[78:79]
	s_waitcnt vmcnt(0)
	v_cmp_ne_u32_e32 vcc_lo, 0, v2
	s_cbranch_vccnz .LBB20_40
; %bb.61:                               ;   in Loop: Header=BB20_41 Depth=3
	v_mov_b32_e32 v2, s10
	global_store_dword v1, v2, s[78:79]
	s_branch .LBB20_40
.LBB20_62:                              ;   in Loop: Header=BB20_22 Depth=2
	s_waitcnt vmcnt(0)
	v_mov_b32_e32 v28, v26
	v_mov_b32_e32 v27, v25
	s_waitcnt_vscnt null, 0x0
	buffer_gl0_inv
	s_and_saveexec_b32 s10, s4
	s_cbranch_execnz .LBB20_249
	s_branch .LBB20_253
.LBB20_63:                              ;   in Loop: Header=BB20_22 Depth=2
	global_load_dwordx2 v[31:32], v1, s[80:81]
	v_mul_f64 v[29:30], v[3:4], v[29:30]
	s_waitcnt vmcnt(0)
	v_cmp_le_f64_e64 s10, |v[31:32]|, v[29:30]
	s_and_b32 vcc_lo, exec_lo, s10
	s_cbranch_vccz .LBB20_66
; %bb.64:                               ;   in Loop: Header=BB20_22 Depth=2
	global_load_dword v2, v1, s[78:79]
	s_waitcnt vmcnt(0)
	v_cmp_ne_u32_e32 vcc_lo, 0, v2
	s_cbranch_vccnz .LBB20_66
; %bb.65:                               ;   in Loop: Header=BB20_22 Depth=2
	global_store_dword v1, v51, s[78:79]
.LBB20_66:                              ;   in Loop: Header=BB20_22 Depth=2
	s_or_b32 exec_lo, exec_lo, s9
	v_add_f64 v[27:28], v[25:26], -v[27:28]
	s_mov_b32 s91, 0
	s_mov_b32 s92, 0
	v_cmp_gt_f64_e64 s90, |v[27:28]|, v[17:18]
.LBB20_67:                              ;   Parent Loop BB20_12 Depth=1
                                        ;     Parent Loop BB20_22 Depth=2
                                        ; =>    This Loop Header: Depth=3
                                        ;         Child Loop BB20_69 Depth 4
                                        ;         Child Loop BB20_108 Depth 4
	;; [unrolled: 1-line block ×5, first 2 shown]
                                        ;           Child Loop BB20_127 Depth 5
                                        ;         Child Loop BB20_141 Depth 4
                                        ;           Child Loop BB20_142 Depth 5
                                        ;           Child Loop BB20_144 Depth 5
                                        ;         Child Loop BB20_149 Depth 4
	v_mov_b32_e32 v27, 0
	v_mov_b32_e32 v28, 0
	v_bfrev_b32_e32 v2, -2
	s_and_saveexec_b32 s10, s5
	s_cbranch_execz .LBB20_71
; %bb.68:                               ;   in Loop: Header=BB20_67 Depth=3
	v_mov_b32_e32 v27, 0
	v_mov_b32_e32 v30, v6
	v_bfrev_b32_e32 v2, -2
	v_mov_b32_e32 v31, v0
	v_mov_b32_e32 v28, 0
	;; [unrolled: 1-line block ×3, first 2 shown]
	s_mov_b32 s48, 0
	.p2align	6
.LBB20_69:                              ;   Parent Loop BB20_12 Depth=1
                                        ;     Parent Loop BB20_22 Depth=2
                                        ;       Parent Loop BB20_67 Depth=3
                                        ; =>      This Inner Loop Header: Depth=4
	global_load_dwordx2 v[32:33], v[29:30], off
	v_cmp_eq_u32_e32 vcc_lo, 0x7fffffff, v2
	v_add_nc_u32_e32 v34, 1, v31
	v_add_nc_u32_e32 v31, 0x100, v31
	v_add_co_u32 v29, s9, 0x800, v29
	v_add_co_ci_u32_e64 v30, null, 0, v30, s9
	v_cmp_lt_i32_e64 s9, s72, v31
	s_waitcnt vmcnt(0)
	v_cmp_lt_f64_e64 s49, v[27:28], |v[32:33]|
	v_and_b32_e32 v33, 0x7fffffff, v33
	s_or_b32 vcc_lo, s49, vcc_lo
	s_or_b32 s48, s9, s48
	v_cndmask_b32_e32 v27, v27, v32, vcc_lo
	v_cndmask_b32_e32 v28, v28, v33, vcc_lo
	;; [unrolled: 1-line block ×3, first 2 shown]
	s_andn2_b32 exec_lo, exec_lo, s48
	s_cbranch_execnz .LBB20_69
; %bb.70:                               ;   in Loop: Header=BB20_67 Depth=3
	s_or_b32 exec_lo, exec_lo, s48
.LBB20_71:                              ;   in Loop: Header=BB20_67 Depth=3
	s_or_b32 exec_lo, exec_lo, s10
	ds_write_b64 v46, v[27:28]
	ds_write_b32 v47, v2 offset:4096
	s_waitcnt lgkmcnt(0)
	s_waitcnt_vscnt null, 0x0
	s_barrier
	buffer_gl0_inv
	s_and_saveexec_b32 s10, s1
	s_cbranch_execz .LBB20_77
; %bb.72:                               ;   in Loop: Header=BB20_67 Depth=3
	ds_read_b64 v[29:30], v46 offset:1024
	ds_read_b32 v31, v47 offset:4608
	s_mov_b32 s49, exec_lo
	s_waitcnt lgkmcnt(1)
	v_cmp_lt_f64_e64 s48, v[27:28], v[29:30]
	v_cmpx_nlt_f64_e32 v[27:28], v[29:30]
	s_cbranch_execz .LBB20_74
; %bb.73:                               ;   in Loop: Header=BB20_67 Depth=3
	v_cmp_eq_f64_e32 vcc_lo, v[27:28], v[29:30]
	s_waitcnt lgkmcnt(0)
	v_cmp_gt_i32_e64 s9, v2, v31
	s_andn2_b32 s48, s48, exec_lo
	s_and_b32 s9, vcc_lo, s9
	s_and_b32 s9, s9, exec_lo
	s_or_b32 s48, s48, s9
.LBB20_74:                              ;   in Loop: Header=BB20_67 Depth=3
	s_or_b32 exec_lo, exec_lo, s49
	s_and_saveexec_b32 s9, s48
	s_cbranch_execz .LBB20_76
; %bb.75:                               ;   in Loop: Header=BB20_67 Depth=3
	v_mov_b32_e32 v27, v29
	s_waitcnt lgkmcnt(0)
	v_mov_b32_e32 v2, v31
	v_mov_b32_e32 v28, v30
	ds_write_b32 v47, v31 offset:4096
	ds_write_b64 v46, v[29:30]
.LBB20_76:                              ;   in Loop: Header=BB20_67 Depth=3
	s_or_b32 exec_lo, exec_lo, s9
.LBB20_77:                              ;   in Loop: Header=BB20_67 Depth=3
	s_or_b32 exec_lo, exec_lo, s10
	s_waitcnt lgkmcnt(0)
	s_barrier
	buffer_gl0_inv
	s_and_saveexec_b32 s10, s2
	s_cbranch_execz .LBB20_83
; %bb.78:                               ;   in Loop: Header=BB20_67 Depth=3
	ds_read_b64 v[29:30], v46 offset:512
	ds_read_b32 v31, v47 offset:4352
	s_mov_b32 s49, exec_lo
	s_waitcnt lgkmcnt(1)
	v_cmp_lt_f64_e64 s48, v[27:28], v[29:30]
	v_cmpx_nlt_f64_e32 v[27:28], v[29:30]
	s_cbranch_execz .LBB20_80
; %bb.79:                               ;   in Loop: Header=BB20_67 Depth=3
	v_cmp_eq_f64_e32 vcc_lo, v[27:28], v[29:30]
	s_waitcnt lgkmcnt(0)
	v_cmp_gt_i32_e64 s9, v2, v31
	s_andn2_b32 s48, s48, exec_lo
	s_and_b32 s9, vcc_lo, s9
	s_and_b32 s9, s9, exec_lo
	s_or_b32 s48, s48, s9
.LBB20_80:                              ;   in Loop: Header=BB20_67 Depth=3
	s_or_b32 exec_lo, exec_lo, s49
	s_and_saveexec_b32 s9, s48
	s_cbranch_execz .LBB20_82
; %bb.81:                               ;   in Loop: Header=BB20_67 Depth=3
	v_mov_b32_e32 v27, v29
	s_waitcnt lgkmcnt(0)
	v_mov_b32_e32 v2, v31
	v_mov_b32_e32 v28, v30
	ds_write_b32 v47, v31 offset:4096
	ds_write_b64 v46, v[29:30]
.LBB20_82:                              ;   in Loop: Header=BB20_67 Depth=3
	s_or_b32 exec_lo, exec_lo, s9
.LBB20_83:                              ;   in Loop: Header=BB20_67 Depth=3
	s_or_b32 exec_lo, exec_lo, s10
	s_waitcnt lgkmcnt(0)
	s_barrier
	buffer_gl0_inv
	s_and_saveexec_b32 s84, s3
	s_cbranch_execz .LBB20_106
; %bb.84:                               ;   in Loop: Header=BB20_67 Depth=3
	ds_read_b64 v[29:30], v46 offset:256
	ds_read_b32 v31, v47 offset:4224
	s_mov_b32 s48, exec_lo
	s_waitcnt lgkmcnt(1)
	v_cmp_lt_f64_e64 s10, v[27:28], v[29:30]
	v_cmpx_nlt_f64_e32 v[27:28], v[29:30]
	s_cbranch_execz .LBB20_86
; %bb.85:                               ;   in Loop: Header=BB20_67 Depth=3
	v_cmp_eq_f64_e32 vcc_lo, v[27:28], v[29:30]
	s_waitcnt lgkmcnt(0)
	v_cmp_gt_i32_e64 s9, v2, v31
	s_andn2_b32 s10, s10, exec_lo
	s_and_b32 s9, vcc_lo, s9
	s_and_b32 s9, s9, exec_lo
	s_or_b32 s10, s10, s9
.LBB20_86:                              ;   in Loop: Header=BB20_67 Depth=3
	s_or_b32 exec_lo, exec_lo, s48
	s_and_saveexec_b32 s9, s10
	s_cbranch_execz .LBB20_88
; %bb.87:                               ;   in Loop: Header=BB20_67 Depth=3
	v_mov_b32_e32 v27, v29
	v_mov_b32_e32 v28, v30
	s_waitcnt lgkmcnt(0)
	v_mov_b32_e32 v2, v31
	ds_write_b64 v46, v[29:30]
	ds_write_b32 v47, v31 offset:4096
.LBB20_88:                              ;   in Loop: Header=BB20_67 Depth=3
	s_or_b32 exec_lo, exec_lo, s9
	ds_read_b64 v[29:30], v46 offset:128
	s_waitcnt lgkmcnt(1)
	ds_read_b32 v31, v47 offset:4160
	s_mov_b32 s48, exec_lo
	s_waitcnt lgkmcnt(1)
	v_cmp_lt_f64_e64 s10, v[27:28], v[29:30]
	v_cmpx_nlt_f64_e32 v[27:28], v[29:30]
	s_cbranch_execz .LBB20_90
; %bb.89:                               ;   in Loop: Header=BB20_67 Depth=3
	v_cmp_eq_f64_e32 vcc_lo, v[27:28], v[29:30]
	s_waitcnt lgkmcnt(0)
	v_cmp_gt_i32_e64 s9, v2, v31
	s_andn2_b32 s10, s10, exec_lo
	s_and_b32 s9, vcc_lo, s9
	s_and_b32 s9, s9, exec_lo
	s_or_b32 s10, s10, s9
.LBB20_90:                              ;   in Loop: Header=BB20_67 Depth=3
	s_or_b32 exec_lo, exec_lo, s48
	s_and_saveexec_b32 s9, s10
	s_cbranch_execz .LBB20_92
; %bb.91:                               ;   in Loop: Header=BB20_67 Depth=3
	v_mov_b32_e32 v27, v29
	v_mov_b32_e32 v28, v30
	s_waitcnt lgkmcnt(0)
	v_mov_b32_e32 v2, v31
	ds_write_b64 v46, v[29:30]
	ds_write_b32 v47, v31 offset:4096
.LBB20_92:                              ;   in Loop: Header=BB20_67 Depth=3
	s_or_b32 exec_lo, exec_lo, s9
	ds_read_b64 v[29:30], v46 offset:64
	s_waitcnt lgkmcnt(1)
	;; [unrolled: 29-line block ×3, first 2 shown]
	ds_read_b32 v31, v47 offset:4112
	s_mov_b32 s48, exec_lo
	s_waitcnt lgkmcnt(1)
	v_cmp_lt_f64_e64 s10, v[27:28], v[29:30]
	v_cmpx_nlt_f64_e32 v[27:28], v[29:30]
	s_cbranch_execz .LBB20_98
; %bb.97:                               ;   in Loop: Header=BB20_67 Depth=3
	v_cmp_eq_f64_e32 vcc_lo, v[27:28], v[29:30]
	s_waitcnt lgkmcnt(0)
	v_cmp_gt_i32_e64 s9, v2, v31
	s_andn2_b32 s10, s10, exec_lo
	s_and_b32 s9, vcc_lo, s9
	s_and_b32 s9, s9, exec_lo
	s_or_b32 s10, s10, s9
.LBB20_98:                              ;   in Loop: Header=BB20_67 Depth=3
	s_or_b32 exec_lo, exec_lo, s48
	s_and_saveexec_b32 s9, s10
	s_cbranch_execz .LBB20_100
; %bb.99:                               ;   in Loop: Header=BB20_67 Depth=3
	v_mov_b32_e32 v27, v29
	v_mov_b32_e32 v28, v30
	s_waitcnt lgkmcnt(0)
	v_mov_b32_e32 v2, v31
	ds_write_b64 v46, v[29:30]
	ds_write_b32 v47, v31 offset:4096
.LBB20_100:                             ;   in Loop: Header=BB20_67 Depth=3
	s_or_b32 exec_lo, exec_lo, s9
	ds_read_b64 v[29:30], v46 offset:16
	s_waitcnt lgkmcnt(1)
	ds_read_b32 v31, v47 offset:4104
	s_mov_b32 s48, exec_lo
	s_waitcnt lgkmcnt(1)
	v_cmp_lt_f64_e64 s10, v[27:28], v[29:30]
	v_cmpx_nlt_f64_e32 v[27:28], v[29:30]
	s_cbranch_execz .LBB20_102
; %bb.101:                              ;   in Loop: Header=BB20_67 Depth=3
	v_cmp_eq_f64_e32 vcc_lo, v[27:28], v[29:30]
	s_waitcnt lgkmcnt(0)
	v_cmp_gt_i32_e64 s9, v2, v31
	s_andn2_b32 s10, s10, exec_lo
	s_and_b32 s9, vcc_lo, s9
	s_and_b32 s9, s9, exec_lo
	s_or_b32 s10, s10, s9
.LBB20_102:                             ;   in Loop: Header=BB20_67 Depth=3
	s_or_b32 exec_lo, exec_lo, s48
	s_and_saveexec_b32 s9, s10
	s_cbranch_execz .LBB20_104
; %bb.103:                              ;   in Loop: Header=BB20_67 Depth=3
	v_mov_b32_e32 v27, v29
	v_mov_b32_e32 v28, v30
	s_waitcnt lgkmcnt(0)
	v_mov_b32_e32 v2, v31
	ds_write_b64 v46, v[29:30]
	ds_write_b32 v47, v31 offset:4096
.LBB20_104:                             ;   in Loop: Header=BB20_67 Depth=3
	s_or_b32 exec_lo, exec_lo, s9
	ds_read_b64 v[29:30], v46 offset:8
	s_waitcnt lgkmcnt(1)
	ds_read_b32 v31, v47 offset:4100
	s_waitcnt lgkmcnt(1)
	v_cmp_eq_f64_e32 vcc_lo, v[27:28], v[29:30]
	v_cmp_lt_f64_e64 s9, v[27:28], v[29:30]
	s_waitcnt lgkmcnt(0)
	v_cmp_gt_i32_e64 s10, v2, v31
	s_and_b32 s10, vcc_lo, s10
	s_or_b32 s9, s9, s10
	s_and_b32 exec_lo, exec_lo, s9
	s_cbranch_execz .LBB20_106
; %bb.105:                              ;   in Loop: Header=BB20_67 Depth=3
	ds_write_b64 v46, v[29:30]
	ds_write_b32 v47, v31 offset:4096
.LBB20_106:                             ;   in Loop: Header=BB20_67 Depth=3
	s_or_b32 exec_lo, exec_lo, s84
	s_waitcnt lgkmcnt(0)
	s_barrier
	buffer_gl0_inv
	s_and_saveexec_b32 s10, s5
	s_cbranch_execz .LBB20_109
; %bb.107:                              ;   in Loop: Header=BB20_67 Depth=3
	global_load_dwordx2 v[27:28], v1, s[76:77]
	ds_read_b64 v[29:30], v50
	s_mov_b32 s48, 0
	s_waitcnt vmcnt(0)
	v_cmp_lt_f64_e64 vcc_lo, s[20:21], |v[27:28]|
	v_and_b32_e32 v2, 0x7fffffff, v28
	v_cndmask_b32_e32 v27, s20, v27, vcc_lo
	v_cndmask_b32_e32 v28, s21, v2, vcc_lo
	v_mov_b32_e32 v2, v0
	v_mul_f64 v[27:28], v[19:20], v[27:28]
	s_waitcnt lgkmcnt(0)
	v_div_scale_f64 v[31:32], null, v[29:30], v[29:30], v[27:28]
	v_rcp_f64_e32 v[33:34], v[31:32]
	v_fma_f64 v[35:36], -v[31:32], v[33:34], 1.0
	v_fma_f64 v[33:34], v[33:34], v[35:36], v[33:34]
	v_fma_f64 v[35:36], -v[31:32], v[33:34], 1.0
	v_fma_f64 v[33:34], v[33:34], v[35:36], v[33:34]
	v_div_scale_f64 v[35:36], vcc_lo, v[27:28], v[29:30], v[27:28]
	v_mul_f64 v[37:38], v[35:36], v[33:34]
	v_fma_f64 v[31:32], -v[31:32], v[37:38], v[35:36]
	v_div_fmas_f64 v[31:32], v[31:32], v[33:34], v[37:38]
	v_div_fixup_f64 v[27:28], v[31:32], v[29:30], v[27:28]
	v_mov_b32_e32 v30, v6
	v_mov_b32_e32 v29, v5
	.p2align	6
.LBB20_108:                             ;   Parent Loop BB20_12 Depth=1
                                        ;     Parent Loop BB20_22 Depth=2
                                        ;       Parent Loop BB20_67 Depth=3
                                        ; =>      This Inner Loop Header: Depth=4
	global_load_dwordx2 v[31:32], v[29:30], off
	v_add_nc_u32_e32 v2, 0x100, v2
	v_cmp_lt_i32_e32 vcc_lo, s72, v2
	s_or_b32 s48, vcc_lo, s48
	s_waitcnt vmcnt(0)
	v_mul_f64 v[31:32], v[27:28], v[31:32]
	global_store_dwordx2 v[29:30], v[31:32], off
	v_add_co_u32 v29, s9, 0x800, v29
	v_add_co_ci_u32_e64 v30, null, 0, v30, s9
	s_andn2_b32 exec_lo, exec_lo, s48
	s_cbranch_execnz .LBB20_108
.LBB20_109:                             ;   in Loop: Header=BB20_67 Depth=3
	s_or_b32 exec_lo, exec_lo, s10
	s_waitcnt_vscnt null, 0x0
	s_barrier
	buffer_gl0_inv
	s_and_saveexec_b32 s93, s0
	s_cbranch_execz .LBB20_137
; %bb.110:                              ;   in Loop: Header=BB20_67 Depth=3
	s_clause 0x1
	global_load_dwordx2 v[31:32], v1, s[38:39] offset:8
	global_load_dwordx4 v[27:30], v1, s[30:31]
	s_andn2_b32 vcc_lo, exec_lo, s7
	s_mov_b64 s[84:85], s[42:43]
	s_mov_b64 s[86:87], s[56:57]
	s_mov_b32 s9, s71
	s_waitcnt vmcnt(1)
	v_max_f64 v[31:32], |v[31:32]|, |v[31:32]|
	s_waitcnt vmcnt(0)
	v_max_f64 v[29:30], |v[29:30]|, |v[29:30]|
	v_max_f64 v[27:28], |v[27:28]|, |v[27:28]|
	v_max_f64 v[29:30], v[29:30], v[31:32]
	v_max_f64 v[27:28], v[27:28], v[29:30]
	s_cbranch_vccnz .LBB20_112
	.p2align	6
.LBB20_111:                             ;   Parent Loop BB20_12 Depth=1
                                        ;     Parent Loop BB20_22 Depth=2
                                        ;       Parent Loop BB20_67 Depth=3
                                        ; =>      This Inner Loop Header: Depth=4
	s_add_u32 s48, s86, s27
	s_addc_u32 s49, s87, s62
	s_clause 0x2
	global_load_dwordx2 v[29:30], v1, s[86:87]
	global_load_dwordx2 v[31:32], v1, s[84:85]
	;; [unrolled: 1-line block ×3, first 2 shown]
	v_max_f64 v[27:28], v[27:28], v[27:28]
	s_add_i32 s9, s9, -1
	s_add_u32 s86, s86, 8
	s_addc_u32 s87, s87, 0
	s_add_u32 s84, s84, 8
	s_addc_u32 s85, s85, 0
	s_cmp_lg_u32 s9, 0
	s_waitcnt vmcnt(2)
	v_max_f64 v[29:30], |v[29:30]|, |v[29:30]|
	s_waitcnt vmcnt(1)
	v_max_f64 v[31:32], |v[31:32]|, |v[31:32]|
	s_waitcnt vmcnt(0)
	v_max_f64 v[33:34], |v[33:34]|, |v[33:34]|
	v_max_f64 v[27:28], v[27:28], v[29:30]
	v_max_f64 v[29:30], v[33:34], v[31:32]
	;; [unrolled: 1-line block ×3, first 2 shown]
	s_cbranch_scc1 .LBB20_111
.LBB20_112:                             ;   in Loop: Header=BB20_67 Depth=3
	s_mov_b32 s9, s72
	s_mov_b64 s[84:85], s[18:19]
	s_mov_b64 s[86:87], s[40:41]
	;; [unrolled: 1-line block ×3, first 2 shown]
	s_inst_prefetch 0x1
	s_branch .LBB20_114
	.p2align	6
.LBB20_113:                             ;   in Loop: Header=BB20_114 Depth=4
	s_add_u32 s88, s88, 8
	s_addc_u32 s89, s89, 0
	s_add_u32 s86, s86, 8
	s_addc_u32 s87, s87, 0
	;; [unrolled: 2-line block ×3, first 2 shown]
	s_add_i32 s9, s9, -1
	s_cmp_lg_u32 s9, 0
	s_cbranch_scc0 .LBB20_118
.LBB20_114:                             ;   Parent Loop BB20_12 Depth=1
                                        ;     Parent Loop BB20_22 Depth=2
                                        ;       Parent Loop BB20_67 Depth=3
                                        ; =>      This Inner Loop Header: Depth=4
	global_load_dword v2, v1, s[84:85]
	s_waitcnt vmcnt(0)
	v_cmp_ne_u32_e32 vcc_lo, 0, v2
	s_cbranch_vccz .LBB20_116
; %bb.115:                              ;   in Loop: Header=BB20_114 Depth=4
	global_load_dwordx4 v[29:32], v1, s[88:89] offset:-8
	s_waitcnt vmcnt(0)
	global_store_dwordx2 v1, v[31:32], s[88:89] offset:-8
	global_load_dwordx2 v[33:34], v1, s[86:87]
	s_waitcnt vmcnt(0)
	v_fma_f64 v[29:30], -v[31:32], v[33:34], v[29:30]
	global_store_dwordx2 v1, v[29:30], s[88:89]
	s_cbranch_execnz .LBB20_113
	s_branch .LBB20_117
	.p2align	6
.LBB20_116:                             ;   in Loop: Header=BB20_114 Depth=4
.LBB20_117:                             ;   in Loop: Header=BB20_114 Depth=4
	s_clause 0x1
	global_load_dwordx2 v[33:34], v1, s[86:87]
	global_load_dwordx4 v[29:32], v1, s[88:89] offset:-8
	s_waitcnt vmcnt(0)
	v_fma_f64 v[29:30], -v[33:34], v[29:30], v[31:32]
	global_store_dwordx2 v1, v[29:30], s[88:89]
	s_branch .LBB20_113
.LBB20_118:                             ;   in Loop: Header=BB20_67 Depth=3
	s_inst_prefetch 0x2
	v_mul_f64 v[27:28], s[20:21], v[27:28]
	v_cmp_eq_f64_e32 vcc_lo, 0, v[27:28]
	v_readfirstlane_b32 s9, v28
	v_readfirstlane_b32 s10, v27
	s_and_b32 s48, vcc_lo, exec_lo
	s_cselect_b32 s48, s21, s9
	s_cselect_b32 s49, s20, s10
	s_and_b32 s88, s48, 0x7fffffff
	s_mov_b32 s89, s49
	s_mov_b32 s10, s72
	s_branch .LBB20_121
.LBB20_119:                             ;   in Loop: Header=BB20_121 Depth=4
	v_mov_b32_e32 v29, v37
	v_mov_b32_e32 v30, v38
.LBB20_120:                             ;   in Loop: Header=BB20_121 Depth=4
	v_div_scale_f64 v[31:32], null, v[29:30], v[29:30], v[27:28]
	s_add_i32 s9, s10, -1
	s_cmp_gt_i32 s10, 0
	s_mov_b32 s10, s9
	v_rcp_f64_e32 v[33:34], v[31:32]
	v_fma_f64 v[35:36], -v[31:32], v[33:34], 1.0
	v_fma_f64 v[33:34], v[33:34], v[35:36], v[33:34]
	v_fma_f64 v[35:36], -v[31:32], v[33:34], 1.0
	v_fma_f64 v[33:34], v[33:34], v[35:36], v[33:34]
	v_div_scale_f64 v[35:36], vcc_lo, v[27:28], v[29:30], v[27:28]
	v_mul_f64 v[37:38], v[35:36], v[33:34]
	v_fma_f64 v[31:32], -v[31:32], v[37:38], v[35:36]
	v_div_fmas_f64 v[31:32], v[31:32], v[33:34], v[37:38]
	v_div_fixup_f64 v[27:28], v[31:32], v[29:30], v[27:28]
	global_store_dwordx2 v1, v[27:28], s[84:85]
	s_cbranch_scc0 .LBB20_137
.LBB20_121:                             ;   Parent Loop BB20_12 Depth=1
                                        ;     Parent Loop BB20_22 Depth=2
                                        ;       Parent Loop BB20_67 Depth=3
                                        ; =>      This Loop Header: Depth=4
                                        ;           Child Loop BB20_127 Depth 5
	s_lshl_b64 s[86:87], s[10:11], 3
	s_add_u32 s84, s36, s86
	s_addc_u32 s85, s37, s87
	s_cmp_ge_i32 s10, s72
	global_load_dwordx2 v[27:28], v1, s[84:85]
	s_cbranch_scc1 .LBB20_123
; %bb.122:                              ;   in Loop: Header=BB20_121 Depth=4
	s_add_u32 s94, s38, s86
	s_addc_u32 s95, s39, s87
	s_clause 0x1
	global_load_dwordx2 v[29:30], v1, s[94:95] offset:8
	global_load_dwordx2 v[31:32], v1, s[84:85] offset:8
	s_waitcnt vmcnt(0)
	v_fma_f64 v[27:28], -v[29:30], v[31:32], v[27:28]
.LBB20_123:                             ;   in Loop: Header=BB20_121 Depth=4
	s_cmp_ge_i32 s10, s71
	s_cbranch_scc1 .LBB20_125
; %bb.124:                              ;   in Loop: Header=BB20_121 Depth=4
	s_add_u32 s94, s42, s86
	s_addc_u32 s95, s43, s87
	s_clause 0x1
	global_load_dwordx2 v[29:30], v1, s[94:95]
	global_load_dwordx2 v[31:32], v1, s[84:85] offset:16
	s_waitcnt vmcnt(0)
	v_fma_f64 v[27:28], -v[29:30], v[31:32], v[27:28]
.LBB20_125:                             ;   in Loop: Header=BB20_121 Depth=4
	s_add_u32 s86, s30, s86
	s_addc_u32 s87, s31, s87
	global_load_dwordx2 v[29:30], v1, s[86:87]
	s_waitcnt vmcnt(0)
	v_cmp_nlt_f64_e64 s9, |v[29:30]|, 1.0
	s_and_b32 vcc_lo, exec_lo, s9
	s_cbranch_vccnz .LBB20_120
; %bb.126:                              ;   in Loop: Header=BB20_121 Depth=4
	v_cmp_nle_f64_e32 vcc_lo, 0, v[29:30]
	v_mul_f64 v[31:32], s[22:23], |v[27:28]|
	s_xor_b32 s9, s88, 0x80000000
	s_and_b32 s86, s48, 0x7fffffff
	v_and_b32_e32 v36, 0x7fffffff, v30
	v_mov_b32_e32 v35, v29
	s_and_b32 s87, vcc_lo, exec_lo
	s_cselect_b32 s87, s9, s86
	s_cselect_b32 s86, s89, s49
	v_mov_b32_e32 v33, s86
	v_mov_b32_e32 v34, s87
	.p2align	6
.LBB20_127:                             ;   Parent Loop BB20_12 Depth=1
                                        ;     Parent Loop BB20_22 Depth=2
                                        ;       Parent Loop BB20_67 Depth=3
                                        ;         Parent Loop BB20_121 Depth=4
                                        ; =>        This Inner Loop Header: Depth=5
	v_cmp_ngt_f64_e32 vcc_lo, s[22:23], v[35:36]
	s_mov_b32 s9, -1
	s_mov_b32 s86, 0
	s_mov_b32 s87, -1
	s_cbranch_vccnz .LBB20_131
; %bb.128:                              ;   in Loop: Header=BB20_127 Depth=5
	s_andn2_b32 vcc_lo, exec_lo, s87
	s_cbranch_vccz .LBB20_132
.LBB20_129:                             ;   in Loop: Header=BB20_127 Depth=5
	s_andn2_b32 vcc_lo, exec_lo, s86
	s_cbranch_vccnz .LBB20_133
.LBB20_130:                             ;   in Loop: Header=BB20_127 Depth=5
	v_add_f64 v[37:38], v[29:30], v[33:34]
	v_add_f64 v[33:34], v[33:34], v[33:34]
	s_mov_b32 s9, -1
	v_cmp_nlt_f64_e64 s86, |v[37:38]|, 1.0
	v_and_b32_e32 v36, 0x7fffffff, v38
	v_mov_b32_e32 v35, v37
	s_andn2_b32 vcc_lo, exec_lo, s86
	s_cbranch_vccnz .LBB20_134
	s_branch .LBB20_135
	.p2align	6
.LBB20_131:                             ;   in Loop: Header=BB20_127 Depth=5
	v_mul_f64 v[37:38], v[11:12], v[35:36]
	v_cmp_gt_f64_e64 s86, |v[27:28]|, v[37:38]
	s_cbranch_execnz .LBB20_129
.LBB20_132:                             ;   in Loop: Header=BB20_127 Depth=5
	v_cmp_gt_f64_e32 vcc_lo, v[31:32], v[35:36]
	v_cmp_eq_f64_e64 s9, 0, v[29:30]
	s_or_b32 s86, s9, vcc_lo
	s_mov_b32 s9, 0
	s_andn2_b32 vcc_lo, exec_lo, s86
	s_cbranch_vccz .LBB20_130
.LBB20_133:                             ;   in Loop: Header=BB20_121 Depth=4
	v_mov_b32_e32 v38, v30
	v_mov_b32_e32 v37, v29
                                        ; implicit-def: $vgpr33_vgpr34
                                        ; implicit-def: $vgpr35_vgpr36
	s_branch .LBB20_135
.LBB20_134:                             ;   in Loop: Header=BB20_127 Depth=5
	v_mov_b32_e32 v29, v37
	v_mov_b32_e32 v30, v38
	s_branch .LBB20_127
.LBB20_135:                             ;   in Loop: Header=BB20_121 Depth=4
	s_andn2_b32 vcc_lo, exec_lo, s9
	s_cbranch_vccz .LBB20_119
; %bb.136:                              ;   in Loop: Header=BB20_121 Depth=4
	v_mul_f64 v[27:28], v[11:12], v[27:28]
	v_mul_f64 v[37:38], v[11:12], v[29:30]
	s_branch .LBB20_119
.LBB20_137:                             ;   in Loop: Header=BB20_67 Depth=3
	s_or_b32 exec_lo, exec_lo, s93
	s_andn2_b32 vcc_lo, exec_lo, s83
	s_waitcnt_vscnt null, 0x0
	s_barrier
	buffer_gl0_inv
	s_cbranch_vccnz .LBB20_147
; %bb.138:                              ;   in Loop: Header=BB20_67 Depth=3
	s_and_b32 s9, s90, exec_lo
	s_cselect_b32 s9, s82, s69
	s_mov_b32 s69, s82
	s_cmp_eq_u32 s9, s82
	s_cbranch_scc1 .LBB20_147
; %bb.139:                              ;   in Loop: Header=BB20_67 Depth=3
	s_cmp_lt_i32 s9, s82
	s_cselect_b32 s10, -1, 0
	s_and_b32 s48, s0, s10
	s_and_saveexec_b32 s10, s48
	s_cbranch_execz .LBB20_146
; %bb.140:                              ;   in Loop: Header=BB20_67 Depth=3
	s_mul_i32 s48, s29, s9
	s_mov_b32 s49, s9
	s_add_i32 s48, s68, s48
	s_inst_prefetch 0x1
	.p2align	6
.LBB20_141:                             ;   Parent Loop BB20_12 Depth=1
                                        ;     Parent Loop BB20_22 Depth=2
                                        ;       Parent Loop BB20_67 Depth=3
                                        ; =>      This Loop Header: Depth=4
                                        ;           Child Loop BB20_142 Depth 5
                                        ;           Child Loop BB20_144 Depth 5
	v_mov_b32_e32 v27, 0
	v_mov_b32_e32 v28, 0
	s_mov_b64 s[84:85], s[36:37]
	s_mov_b32 s86, s48
	s_mov_b32 s69, s73
.LBB20_142:                             ;   Parent Loop BB20_12 Depth=1
                                        ;     Parent Loop BB20_22 Depth=2
                                        ;       Parent Loop BB20_67 Depth=3
                                        ;         Parent Loop BB20_141 Depth=4
                                        ; =>        This Inner Loop Header: Depth=5
	s_ashr_i32 s87, s86, 31
	s_lshl_b64 s[88:89], s[86:87], 3
	s_add_u32 s88, s28, s88
	s_addc_u32 s89, s26, s89
	s_clause 0x1
	global_load_dwordx2 v[29:30], v1, s[84:85]
	global_load_dwordx2 v[31:32], v1, s[88:89]
	s_add_i32 s69, s69, -1
	s_add_i32 s86, s86, 1
	s_add_u32 s84, s84, 8
	s_addc_u32 s85, s85, 0
	s_cmp_lg_u32 s69, 0
	s_waitcnt vmcnt(0)
	v_fma_f64 v[27:28], v[29:30], v[31:32], v[27:28]
	s_cbranch_scc1 .LBB20_142
; %bb.143:                              ;   in Loop: Header=BB20_141 Depth=4
	s_mov_b32 s69, 0
	s_mov_b64 s[84:85], s[36:37]
	.p2align	6
.LBB20_144:                             ;   Parent Loop BB20_12 Depth=1
                                        ;     Parent Loop BB20_22 Depth=2
                                        ;       Parent Loop BB20_67 Depth=3
                                        ;         Parent Loop BB20_141 Depth=4
                                        ; =>        This Inner Loop Header: Depth=5
	s_add_i32 s86, s48, s69
	global_load_dwordx2 v[29:30], v1, s[84:85]
	s_ashr_i32 s87, s86, 31
	s_lshl_b64 s[86:87], s[86:87], 3
	s_add_u32 s86, s28, s86
	s_addc_u32 s87, s26, s87
	s_add_i32 s69, s69, 1
	global_load_dwordx2 v[31:32], v1, s[86:87]
	s_waitcnt vmcnt(0)
	v_fma_f64 v[29:30], -v[27:28], v[31:32], v[29:30]
	global_store_dwordx2 v1, v[29:30], s[84:85]
	s_add_u32 s84, s84, 8
	s_addc_u32 s85, s85, 0
	s_cmp_lg_u32 s73, s69
	s_cbranch_scc1 .LBB20_144
; %bb.145:                              ;   in Loop: Header=BB20_141 Depth=4
	s_add_i32 s49, s49, 1
	s_add_i32 s48, s48, s29
	s_cmp_lt_i32 s49, s82
	s_cbranch_scc1 .LBB20_141
.LBB20_146:                             ;   in Loop: Header=BB20_67 Depth=3
	s_inst_prefetch 0x2
	s_or_b32 exec_lo, exec_lo, s10
	s_mov_b32 s69, s9
	s_waitcnt_vscnt null, 0x0
	s_barrier
	buffer_gl0_inv
.LBB20_147:                             ;   in Loop: Header=BB20_67 Depth=3
	v_mov_b32_e32 v27, 0
	v_mov_b32_e32 v28, 0
	v_bfrev_b32_e32 v2, -2
	s_and_saveexec_b32 s10, s5
	s_cbranch_execz .LBB20_151
; %bb.148:                              ;   in Loop: Header=BB20_67 Depth=3
	v_mov_b32_e32 v27, 0
	v_mov_b32_e32 v30, v6
	v_bfrev_b32_e32 v2, -2
	v_mov_b32_e32 v31, v0
	v_mov_b32_e32 v28, 0
	;; [unrolled: 1-line block ×3, first 2 shown]
	s_mov_b32 s48, 0
	.p2align	6
.LBB20_149:                             ;   Parent Loop BB20_12 Depth=1
                                        ;     Parent Loop BB20_22 Depth=2
                                        ;       Parent Loop BB20_67 Depth=3
                                        ; =>      This Inner Loop Header: Depth=4
	global_load_dwordx2 v[32:33], v[29:30], off
	v_cmp_eq_u32_e32 vcc_lo, 0x7fffffff, v2
	v_add_nc_u32_e32 v34, 1, v31
	v_add_nc_u32_e32 v31, 0x100, v31
	v_add_co_u32 v29, s9, 0x800, v29
	v_add_co_ci_u32_e64 v30, null, 0, v30, s9
	v_cmp_lt_i32_e64 s9, s72, v31
	s_waitcnt vmcnt(0)
	v_cmp_lt_f64_e64 s49, v[27:28], |v[32:33]|
	v_and_b32_e32 v33, 0x7fffffff, v33
	s_or_b32 vcc_lo, s49, vcc_lo
	s_or_b32 s48, s9, s48
	v_cndmask_b32_e32 v27, v27, v32, vcc_lo
	v_cndmask_b32_e32 v28, v28, v33, vcc_lo
	;; [unrolled: 1-line block ×3, first 2 shown]
	s_andn2_b32 exec_lo, exec_lo, s48
	s_cbranch_execnz .LBB20_149
; %bb.150:                              ;   in Loop: Header=BB20_67 Depth=3
	s_or_b32 exec_lo, exec_lo, s48
.LBB20_151:                             ;   in Loop: Header=BB20_67 Depth=3
	s_or_b32 exec_lo, exec_lo, s10
	ds_write_b64 v46, v[27:28]
	ds_write_b32 v47, v2 offset:4096
	s_waitcnt lgkmcnt(0)
	s_barrier
	buffer_gl0_inv
	s_and_saveexec_b32 s10, s1
	s_cbranch_execz .LBB20_157
; %bb.152:                              ;   in Loop: Header=BB20_67 Depth=3
	ds_read_b64 v[29:30], v46 offset:1024
	ds_read_b32 v31, v47 offset:4608
	s_mov_b32 s49, exec_lo
	s_waitcnt lgkmcnt(1)
	v_cmp_lt_f64_e64 s48, v[27:28], v[29:30]
	v_cmpx_nlt_f64_e32 v[27:28], v[29:30]
	s_cbranch_execz .LBB20_154
; %bb.153:                              ;   in Loop: Header=BB20_67 Depth=3
	v_cmp_eq_f64_e32 vcc_lo, v[27:28], v[29:30]
	s_waitcnt lgkmcnt(0)
	v_cmp_gt_i32_e64 s9, v2, v31
	s_andn2_b32 s48, s48, exec_lo
	s_and_b32 s9, vcc_lo, s9
	s_and_b32 s9, s9, exec_lo
	s_or_b32 s48, s48, s9
.LBB20_154:                             ;   in Loop: Header=BB20_67 Depth=3
	s_or_b32 exec_lo, exec_lo, s49
	s_and_saveexec_b32 s9, s48
	s_cbranch_execz .LBB20_156
; %bb.155:                              ;   in Loop: Header=BB20_67 Depth=3
	v_mov_b32_e32 v27, v29
	s_waitcnt lgkmcnt(0)
	v_mov_b32_e32 v2, v31
	v_mov_b32_e32 v28, v30
	ds_write_b32 v47, v31 offset:4096
	ds_write_b64 v46, v[29:30]
.LBB20_156:                             ;   in Loop: Header=BB20_67 Depth=3
	s_or_b32 exec_lo, exec_lo, s9
.LBB20_157:                             ;   in Loop: Header=BB20_67 Depth=3
	s_or_b32 exec_lo, exec_lo, s10
	s_waitcnt lgkmcnt(0)
	s_barrier
	buffer_gl0_inv
	s_and_saveexec_b32 s10, s2
	s_cbranch_execz .LBB20_163
; %bb.158:                              ;   in Loop: Header=BB20_67 Depth=3
	ds_read_b64 v[29:30], v46 offset:512
	ds_read_b32 v31, v47 offset:4352
	s_mov_b32 s49, exec_lo
	s_waitcnt lgkmcnt(1)
	v_cmp_lt_f64_e64 s48, v[27:28], v[29:30]
	v_cmpx_nlt_f64_e32 v[27:28], v[29:30]
	s_cbranch_execz .LBB20_160
; %bb.159:                              ;   in Loop: Header=BB20_67 Depth=3
	v_cmp_eq_f64_e32 vcc_lo, v[27:28], v[29:30]
	s_waitcnt lgkmcnt(0)
	v_cmp_gt_i32_e64 s9, v2, v31
	s_andn2_b32 s48, s48, exec_lo
	s_and_b32 s9, vcc_lo, s9
	s_and_b32 s9, s9, exec_lo
	s_or_b32 s48, s48, s9
.LBB20_160:                             ;   in Loop: Header=BB20_67 Depth=3
	s_or_b32 exec_lo, exec_lo, s49
	s_and_saveexec_b32 s9, s48
	s_cbranch_execz .LBB20_162
; %bb.161:                              ;   in Loop: Header=BB20_67 Depth=3
	v_mov_b32_e32 v27, v29
	s_waitcnt lgkmcnt(0)
	v_mov_b32_e32 v2, v31
	v_mov_b32_e32 v28, v30
	ds_write_b32 v47, v31 offset:4096
	ds_write_b64 v46, v[29:30]
.LBB20_162:                             ;   in Loop: Header=BB20_67 Depth=3
	s_or_b32 exec_lo, exec_lo, s9
.LBB20_163:                             ;   in Loop: Header=BB20_67 Depth=3
	s_or_b32 exec_lo, exec_lo, s10
	s_waitcnt lgkmcnt(0)
	s_barrier
	buffer_gl0_inv
	s_and_saveexec_b32 s84, s3
	s_cbranch_execz .LBB20_186
; %bb.164:                              ;   in Loop: Header=BB20_67 Depth=3
	ds_read_b64 v[29:30], v46 offset:256
	ds_read_b32 v31, v47 offset:4224
	s_mov_b32 s48, exec_lo
	s_waitcnt lgkmcnt(1)
	v_cmp_lt_f64_e64 s10, v[27:28], v[29:30]
	v_cmpx_nlt_f64_e32 v[27:28], v[29:30]
	s_cbranch_execz .LBB20_166
; %bb.165:                              ;   in Loop: Header=BB20_67 Depth=3
	v_cmp_eq_f64_e32 vcc_lo, v[27:28], v[29:30]
	s_waitcnt lgkmcnt(0)
	v_cmp_gt_i32_e64 s9, v2, v31
	s_andn2_b32 s10, s10, exec_lo
	s_and_b32 s9, vcc_lo, s9
	s_and_b32 s9, s9, exec_lo
	s_or_b32 s10, s10, s9
.LBB20_166:                             ;   in Loop: Header=BB20_67 Depth=3
	s_or_b32 exec_lo, exec_lo, s48
	s_and_saveexec_b32 s9, s10
	s_cbranch_execz .LBB20_168
; %bb.167:                              ;   in Loop: Header=BB20_67 Depth=3
	v_mov_b32_e32 v27, v29
	v_mov_b32_e32 v28, v30
	s_waitcnt lgkmcnt(0)
	v_mov_b32_e32 v2, v31
	ds_write_b64 v46, v[29:30]
	ds_write_b32 v47, v31 offset:4096
.LBB20_168:                             ;   in Loop: Header=BB20_67 Depth=3
	s_or_b32 exec_lo, exec_lo, s9
	ds_read_b64 v[29:30], v46 offset:128
	s_waitcnt lgkmcnt(1)
	ds_read_b32 v31, v47 offset:4160
	s_mov_b32 s48, exec_lo
	s_waitcnt lgkmcnt(1)
	v_cmp_lt_f64_e64 s10, v[27:28], v[29:30]
	v_cmpx_nlt_f64_e32 v[27:28], v[29:30]
	s_cbranch_execz .LBB20_170
; %bb.169:                              ;   in Loop: Header=BB20_67 Depth=3
	v_cmp_eq_f64_e32 vcc_lo, v[27:28], v[29:30]
	s_waitcnt lgkmcnt(0)
	v_cmp_gt_i32_e64 s9, v2, v31
	s_andn2_b32 s10, s10, exec_lo
	s_and_b32 s9, vcc_lo, s9
	s_and_b32 s9, s9, exec_lo
	s_or_b32 s10, s10, s9
.LBB20_170:                             ;   in Loop: Header=BB20_67 Depth=3
	s_or_b32 exec_lo, exec_lo, s48
	s_and_saveexec_b32 s9, s10
	s_cbranch_execz .LBB20_172
; %bb.171:                              ;   in Loop: Header=BB20_67 Depth=3
	v_mov_b32_e32 v27, v29
	v_mov_b32_e32 v28, v30
	s_waitcnt lgkmcnt(0)
	v_mov_b32_e32 v2, v31
	ds_write_b64 v46, v[29:30]
	ds_write_b32 v47, v31 offset:4096
.LBB20_172:                             ;   in Loop: Header=BB20_67 Depth=3
	s_or_b32 exec_lo, exec_lo, s9
	ds_read_b64 v[29:30], v46 offset:64
	s_waitcnt lgkmcnt(1)
	;; [unrolled: 29-line block ×5, first 2 shown]
	ds_read_b32 v31, v47 offset:4100
	s_waitcnt lgkmcnt(1)
	v_cmp_eq_f64_e32 vcc_lo, v[27:28], v[29:30]
	v_cmp_lt_f64_e64 s9, v[27:28], v[29:30]
	s_waitcnt lgkmcnt(0)
	v_cmp_gt_i32_e64 s10, v2, v31
	s_and_b32 s10, vcc_lo, s10
	s_or_b32 s9, s9, s10
	s_and_b32 exec_lo, exec_lo, s9
	s_cbranch_execz .LBB20_186
; %bb.185:                              ;   in Loop: Header=BB20_67 Depth=3
	ds_write_b64 v46, v[29:30]
	ds_write_b32 v47, v31 offset:4096
.LBB20_186:                             ;   in Loop: Header=BB20_67 Depth=3
	s_or_b32 exec_lo, exec_lo, s84
	s_waitcnt lgkmcnt(0)
	s_barrier
	buffer_gl0_inv
	ds_read_b64 v[27:28], v50
	s_add_i32 s9, s92, 1
	s_waitcnt lgkmcnt(0)
	v_cmp_ge_f64_e32 vcc_lo, v[27:28], v[15:16]
	v_cndmask_b32_e64 v2, 0, 1, vcc_lo
	v_readfirstlane_b32 s10, v2
	s_add_i32 s91, s91, s10
	s_cmp_lt_u32 s92, 4
	s_cselect_b32 s48, -1, 0
	s_cmp_lt_u32 s91, 2
	s_cselect_b32 s10, -1, 0
	s_and_b32 s48, s48, s10
	s_and_b32 vcc_lo, exec_lo, s48
	s_cbranch_vccz .LBB20_188
; %bb.187:                              ;   in Loop: Header=BB20_67 Depth=3
	s_mov_b32 s92, s9
	s_branch .LBB20_67
.LBB20_188:                             ;   in Loop: Header=BB20_22 Depth=2
	s_and_b32 s10, s63, s10
	s_and_saveexec_b32 s9, s10
	s_cbranch_execz .LBB20_190
; %bb.189:                              ;   in Loop: Header=BB20_22 Depth=2
	ds_read_b32 v27, v1
	s_add_i32 s10, s82, 1
	v_mov_b32_e32 v2, s10
	s_waitcnt lgkmcnt(0)
	v_ashrrev_i32_e32 v28, 31, v27
	v_lshlrev_b64 v[28:29], 2, v[27:28]
	v_add_nc_u32_e32 v27, 1, v27
	ds_write_b32 v1, v27
	v_add_co_u32 v28, vcc_lo, s52, v28
	v_add_co_ci_u32_e64 v29, null, s53, v29, vcc_lo
	global_store_dword v[28:29], v2, off
.LBB20_190:                             ;   in Loop: Header=BB20_22 Depth=2
	s_or_b32 exec_lo, exec_lo, s9
	v_mov_b32_e32 v27, 0
	v_mov_b32_e32 v28, 0
	v_bfrev_b32_e32 v2, -2
	s_and_saveexec_b32 s10, s5
	s_cbranch_execz .LBB20_194
; %bb.191:                              ;   in Loop: Header=BB20_22 Depth=2
	v_mov_b32_e32 v27, 0
	v_mov_b32_e32 v30, v6
	;; [unrolled: 1-line block ×3, first 2 shown]
	v_bfrev_b32_e32 v2, -2
	v_mov_b32_e32 v29, v5
	v_mov_b32_e32 v31, v0
	s_mov_b32 s48, 0
	.p2align	6
.LBB20_192:                             ;   Parent Loop BB20_12 Depth=1
                                        ;     Parent Loop BB20_22 Depth=2
                                        ; =>    This Inner Loop Header: Depth=3
	global_load_dwordx2 v[32:33], v[29:30], off
	v_cmp_eq_u32_e32 vcc_lo, 0x7fffffff, v2
	v_add_nc_u32_e32 v34, 1, v31
	v_add_nc_u32_e32 v31, 0x100, v31
	v_add_co_u32 v29, s9, 0x800, v29
	v_add_co_ci_u32_e64 v30, null, 0, v30, s9
	v_cmp_lt_i32_e64 s9, s72, v31
	s_waitcnt vmcnt(0)
	v_cmp_lt_f64_e64 s49, v[27:28], |v[32:33]|
	v_and_b32_e32 v33, 0x7fffffff, v33
	s_or_b32 vcc_lo, s49, vcc_lo
	s_or_b32 s48, s9, s48
	v_cndmask_b32_e32 v27, v27, v32, vcc_lo
	v_cndmask_b32_e32 v28, v28, v33, vcc_lo
	;; [unrolled: 1-line block ×3, first 2 shown]
	s_andn2_b32 exec_lo, exec_lo, s48
	s_cbranch_execnz .LBB20_192
; %bb.193:                              ;   in Loop: Header=BB20_22 Depth=2
	s_or_b32 exec_lo, exec_lo, s48
.LBB20_194:                             ;   in Loop: Header=BB20_22 Depth=2
	s_or_b32 exec_lo, exec_lo, s10
	ds_write_b64 v46, v[27:28]
	ds_write_b32 v47, v2 offset:4096
	s_waitcnt lgkmcnt(0)
	s_waitcnt_vscnt null, 0x0
	s_barrier
	buffer_gl0_inv
	s_and_saveexec_b32 s10, s1
	s_cbranch_execz .LBB20_200
; %bb.195:                              ;   in Loop: Header=BB20_22 Depth=2
	ds_read_b64 v[29:30], v46 offset:1024
	ds_read_b32 v31, v47 offset:4608
	s_mov_b32 s49, exec_lo
	s_waitcnt lgkmcnt(1)
	v_cmp_lt_f64_e64 s48, v[27:28], v[29:30]
	v_cmpx_nlt_f64_e32 v[27:28], v[29:30]
	s_cbranch_execz .LBB20_197
; %bb.196:                              ;   in Loop: Header=BB20_22 Depth=2
	v_cmp_eq_f64_e32 vcc_lo, v[27:28], v[29:30]
	s_waitcnt lgkmcnt(0)
	v_cmp_gt_i32_e64 s9, v2, v31
	s_andn2_b32 s48, s48, exec_lo
	s_and_b32 s9, vcc_lo, s9
	s_and_b32 s9, s9, exec_lo
	s_or_b32 s48, s48, s9
.LBB20_197:                             ;   in Loop: Header=BB20_22 Depth=2
	s_or_b32 exec_lo, exec_lo, s49
	s_and_saveexec_b32 s9, s48
	s_cbranch_execz .LBB20_199
; %bb.198:                              ;   in Loop: Header=BB20_22 Depth=2
	v_mov_b32_e32 v27, v29
	s_waitcnt lgkmcnt(0)
	v_mov_b32_e32 v2, v31
	v_mov_b32_e32 v28, v30
	ds_write_b64 v46, v[29:30]
	ds_write_b32 v47, v31 offset:4096
.LBB20_199:                             ;   in Loop: Header=BB20_22 Depth=2
	s_or_b32 exec_lo, exec_lo, s9
.LBB20_200:                             ;   in Loop: Header=BB20_22 Depth=2
	s_or_b32 exec_lo, exec_lo, s10
	s_waitcnt lgkmcnt(0)
	s_barrier
	buffer_gl0_inv
	s_and_saveexec_b32 s10, s2
	s_cbranch_execz .LBB20_206
; %bb.201:                              ;   in Loop: Header=BB20_22 Depth=2
	ds_read_b64 v[29:30], v46 offset:512
	ds_read_b32 v31, v47 offset:4352
	s_mov_b32 s49, exec_lo
	s_waitcnt lgkmcnt(1)
	v_cmp_lt_f64_e64 s48, v[27:28], v[29:30]
	v_cmpx_nlt_f64_e32 v[27:28], v[29:30]
	s_cbranch_execz .LBB20_203
; %bb.202:                              ;   in Loop: Header=BB20_22 Depth=2
	v_cmp_eq_f64_e32 vcc_lo, v[27:28], v[29:30]
	s_waitcnt lgkmcnt(0)
	v_cmp_gt_i32_e64 s9, v2, v31
	s_andn2_b32 s48, s48, exec_lo
	s_and_b32 s9, vcc_lo, s9
	s_and_b32 s9, s9, exec_lo
	s_or_b32 s48, s48, s9
.LBB20_203:                             ;   in Loop: Header=BB20_22 Depth=2
	s_or_b32 exec_lo, exec_lo, s49
	s_and_saveexec_b32 s9, s48
	s_cbranch_execz .LBB20_205
; %bb.204:                              ;   in Loop: Header=BB20_22 Depth=2
	v_mov_b32_e32 v27, v29
	s_waitcnt lgkmcnt(0)
	v_mov_b32_e32 v2, v31
	v_mov_b32_e32 v28, v30
	ds_write_b64 v46, v[29:30]
	ds_write_b32 v47, v31 offset:4096
.LBB20_205:                             ;   in Loop: Header=BB20_22 Depth=2
	s_or_b32 exec_lo, exec_lo, s9
.LBB20_206:                             ;   in Loop: Header=BB20_22 Depth=2
	s_or_b32 exec_lo, exec_lo, s10
	s_waitcnt lgkmcnt(0)
	s_barrier
	buffer_gl0_inv
	s_and_saveexec_b32 s48, s3
	s_cbranch_execz .LBB20_229
; %bb.207:                              ;   in Loop: Header=BB20_22 Depth=2
	ds_read_b64 v[29:30], v46 offset:256
	ds_read_b32 v31, v47 offset:4224
	s_mov_b32 s49, exec_lo
	s_waitcnt lgkmcnt(1)
	v_cmp_lt_f64_e64 s10, v[27:28], v[29:30]
	v_cmpx_nlt_f64_e32 v[27:28], v[29:30]
	s_cbranch_execz .LBB20_209
; %bb.208:                              ;   in Loop: Header=BB20_22 Depth=2
	v_cmp_eq_f64_e32 vcc_lo, v[27:28], v[29:30]
	s_waitcnt lgkmcnt(0)
	v_cmp_gt_i32_e64 s9, v2, v31
	s_andn2_b32 s10, s10, exec_lo
	s_and_b32 s9, vcc_lo, s9
	s_and_b32 s9, s9, exec_lo
	s_or_b32 s10, s10, s9
.LBB20_209:                             ;   in Loop: Header=BB20_22 Depth=2
	s_or_b32 exec_lo, exec_lo, s49
	s_and_saveexec_b32 s9, s10
	s_cbranch_execz .LBB20_211
; %bb.210:                              ;   in Loop: Header=BB20_22 Depth=2
	v_mov_b32_e32 v27, v29
	v_mov_b32_e32 v28, v30
	s_waitcnt lgkmcnt(0)
	v_mov_b32_e32 v2, v31
	ds_write_b64 v46, v[29:30]
	ds_write_b32 v47, v31 offset:4096
.LBB20_211:                             ;   in Loop: Header=BB20_22 Depth=2
	s_or_b32 exec_lo, exec_lo, s9
	ds_read_b64 v[29:30], v46 offset:128
	s_waitcnt lgkmcnt(1)
	ds_read_b32 v31, v47 offset:4160
	s_mov_b32 s49, exec_lo
	s_waitcnt lgkmcnt(1)
	v_cmp_lt_f64_e64 s10, v[27:28], v[29:30]
	v_cmpx_nlt_f64_e32 v[27:28], v[29:30]
	s_cbranch_execz .LBB20_213
; %bb.212:                              ;   in Loop: Header=BB20_22 Depth=2
	v_cmp_eq_f64_e32 vcc_lo, v[27:28], v[29:30]
	s_waitcnt lgkmcnt(0)
	v_cmp_gt_i32_e64 s9, v2, v31
	s_andn2_b32 s10, s10, exec_lo
	s_and_b32 s9, vcc_lo, s9
	s_and_b32 s9, s9, exec_lo
	s_or_b32 s10, s10, s9
.LBB20_213:                             ;   in Loop: Header=BB20_22 Depth=2
	s_or_b32 exec_lo, exec_lo, s49
	s_and_saveexec_b32 s9, s10
	s_cbranch_execz .LBB20_215
; %bb.214:                              ;   in Loop: Header=BB20_22 Depth=2
	v_mov_b32_e32 v27, v29
	v_mov_b32_e32 v28, v30
	s_waitcnt lgkmcnt(0)
	v_mov_b32_e32 v2, v31
	ds_write_b64 v46, v[29:30]
	ds_write_b32 v47, v31 offset:4096
.LBB20_215:                             ;   in Loop: Header=BB20_22 Depth=2
	s_or_b32 exec_lo, exec_lo, s9
	ds_read_b64 v[29:30], v46 offset:64
	s_waitcnt lgkmcnt(1)
	;; [unrolled: 29-line block ×5, first 2 shown]
	ds_read_b32 v31, v47 offset:4100
	s_waitcnt lgkmcnt(1)
	v_cmp_eq_f64_e32 vcc_lo, v[27:28], v[29:30]
	v_cmp_lt_f64_e64 s9, v[27:28], v[29:30]
	s_waitcnt lgkmcnt(0)
	v_cmp_gt_i32_e64 s10, v2, v31
	s_and_b32 s10, vcc_lo, s10
	s_or_b32 s9, s9, s10
	s_and_b32 exec_lo, exec_lo, s9
	s_cbranch_execz .LBB20_229
; %bb.228:                              ;   in Loop: Header=BB20_22 Depth=2
	ds_write_b64 v46, v[29:30]
	ds_write_b32 v47, v31 offset:4096
.LBB20_229:                             ;   in Loop: Header=BB20_22 Depth=2
	s_or_b32 exec_lo, exec_lo, s48
	v_mov_b32_e32 v27, 0
	v_mov_b32_e32 v28, 0
	s_and_saveexec_b32 s10, s8
	s_cbranch_execz .LBB20_233
; %bb.230:                              ;   in Loop: Header=BB20_22 Depth=2
	v_mov_b32_e32 v27, 0
	v_mov_b32_e32 v30, v6
	v_mov_b32_e32 v28, 0
	v_mov_b32_e32 v29, v5
	v_mov_b32_e32 v2, v0
	s_mov_b32 s48, 0
.LBB20_231:                             ;   Parent Loop BB20_12 Depth=1
                                        ;     Parent Loop BB20_22 Depth=2
                                        ; =>    This Inner Loop Header: Depth=3
	global_load_dwordx2 v[31:32], v[29:30], off
	v_add_nc_u32_e32 v2, 0x100, v2
	v_add_co_u32 v29, s9, 0x800, v29
	v_add_co_ci_u32_e64 v30, null, 0, v30, s9
	v_cmp_ge_u32_e32 vcc_lo, v2, v51
	s_or_b32 s48, vcc_lo, s48
	s_waitcnt vmcnt(0)
	v_fma_f64 v[27:28], v[31:32], v[31:32], v[27:28]
	s_andn2_b32 exec_lo, exec_lo, s48
	s_cbranch_execnz .LBB20_231
; %bb.232:                              ;   in Loop: Header=BB20_22 Depth=2
	s_or_b32 exec_lo, exec_lo, s48
.LBB20_233:                             ;   in Loop: Header=BB20_22 Depth=2
	s_or_b32 exec_lo, exec_lo, s10
	v_add_nc_u32_e32 v2, v47, v45
	ds_write_b64 v2, v[27:28] offset:2048
	s_waitcnt lgkmcnt(0)
	s_barrier
	buffer_gl0_inv
	s_and_saveexec_b32 s9, s1
	s_cbranch_execz .LBB20_235
; %bb.234:                              ;   in Loop: Header=BB20_22 Depth=2
	ds_read_b64 v[29:30], v2 offset:3072
	s_waitcnt lgkmcnt(0)
	v_add_f64 v[27:28], v[27:28], v[29:30]
.LBB20_235:                             ;   in Loop: Header=BB20_22 Depth=2
	s_or_b32 exec_lo, exec_lo, s9
	s_barrier
	buffer_gl0_inv
	s_and_saveexec_b32 s9, s1
; %bb.236:                              ;   in Loop: Header=BB20_22 Depth=2
	ds_write_b64 v2, v[27:28] offset:2048
; %bb.237:                              ;   in Loop: Header=BB20_22 Depth=2
	s_or_b32 exec_lo, exec_lo, s9
	s_waitcnt lgkmcnt(0)
	s_barrier
	buffer_gl0_inv
	s_and_saveexec_b32 s9, s2
	s_cbranch_execz .LBB20_239
; %bb.238:                              ;   in Loop: Header=BB20_22 Depth=2
	ds_read_b64 v[29:30], v2 offset:2560
	s_waitcnt lgkmcnt(0)
	v_add_f64 v[27:28], v[27:28], v[29:30]
.LBB20_239:                             ;   in Loop: Header=BB20_22 Depth=2
	s_or_b32 exec_lo, exec_lo, s9
	s_barrier
	buffer_gl0_inv
	s_and_saveexec_b32 s9, s2
; %bb.240:                              ;   in Loop: Header=BB20_22 Depth=2
	ds_write_b64 v2, v[27:28] offset:2048
; %bb.241:                              ;   in Loop: Header=BB20_22 Depth=2
	s_or_b32 exec_lo, exec_lo, s9
	s_waitcnt lgkmcnt(0)
	s_barrier
	buffer_gl0_inv
	s_and_saveexec_b32 s9, s3
	s_cbranch_execz .LBB20_243
; %bb.242:                              ;   in Loop: Header=BB20_22 Depth=2
	v_add_nc_u32_e32 v31, 0x800, v2
	ds_read2_b64 v[27:30], v31 offset1:32
	s_waitcnt lgkmcnt(0)
	v_add_f64 v[27:28], v[27:28], v[29:30]
	ds_write_b64 v2, v[27:28] offset:2048
	s_waitcnt lgkmcnt(0)
	buffer_gl1_inv
	buffer_gl0_inv
	ds_read2_b64 v[27:30], v31 offset1:16
	s_waitcnt lgkmcnt(0)
	v_add_f64 v[27:28], v[27:28], v[29:30]
	ds_write_b64 v2, v[27:28] offset:2048
	s_waitcnt lgkmcnt(0)
	buffer_gl1_inv
	buffer_gl0_inv
	;; [unrolled: 7-line block ×4, first 2 shown]
	ds_read2_b64 v[27:30], v31 offset1:2
	s_waitcnt lgkmcnt(0)
	v_add_f64 v[27:28], v[27:28], v[29:30]
	v_add_nc_u32_e32 v29, 0x800, v2
	ds_write_b64 v2, v[27:28] offset:2048
	s_waitcnt lgkmcnt(0)
	buffer_gl1_inv
	buffer_gl0_inv
	ds_read2_b64 v[27:30], v29 offset1:1
	s_waitcnt lgkmcnt(0)
	v_add_f64 v[27:28], v[27:28], v[29:30]
	ds_write_b64 v2, v[27:28] offset:2048
	s_waitcnt lgkmcnt(0)
	buffer_gl1_inv
	buffer_gl0_inv
.LBB20_243:                             ;   in Loop: Header=BB20_22 Depth=2
	s_or_b32 exec_lo, exec_lo, s9
	s_and_saveexec_b32 s9, s0
	s_cbranch_execz .LBB20_245
; %bb.244:                              ;   in Loop: Header=BB20_22 Depth=2
	ds_read_b64 v[27:28], v50 offset:2048
	s_waitcnt lgkmcnt(0)
	v_cmp_gt_f64_e32 vcc_lo, 0x10000000, v[27:28]
	s_and_b32 s10, vcc_lo, exec_lo
	s_cselect_b32 s10, 0x100, 0
	v_ldexp_f64 v[27:28], v[27:28], s10
	s_cselect_b32 s10, 0xffffff80, 0
	v_rsq_f64_e32 v[29:30], v[27:28]
	v_cmp_class_f64_e64 vcc_lo, v[27:28], 0x260
	v_mul_f64 v[31:32], v[27:28], v[29:30]
	v_mul_f64 v[29:30], v[29:30], 0.5
	v_fma_f64 v[33:34], -v[29:30], v[31:32], 0.5
	v_fma_f64 v[31:32], v[31:32], v[33:34], v[31:32]
	v_fma_f64 v[29:30], v[29:30], v[33:34], v[29:30]
	v_fma_f64 v[33:34], -v[31:32], v[31:32], v[27:28]
	v_fma_f64 v[31:32], v[33:34], v[29:30], v[31:32]
	v_fma_f64 v[33:34], -v[31:32], v[31:32], v[27:28]
	v_fma_f64 v[29:30], v[33:34], v[29:30], v[31:32]
	v_ldexp_f64 v[29:30], v[29:30], s10
	v_cndmask_b32_e32 v28, v30, v28, vcc_lo
	v_cndmask_b32_e32 v27, v29, v27, vcc_lo
	ds_write_b64 v50, v[27:28] offset:2048
.LBB20_245:                             ;   in Loop: Header=BB20_22 Depth=2
	s_or_b32 exec_lo, exec_lo, s9
	s_waitcnt lgkmcnt(0)
	s_barrier
	buffer_gl0_inv
	ds_read_b32 v29, v50 offset:4096
	ds_read_b64 v[27:28], v50 offset:2048
	s_waitcnt lgkmcnt(1)
	v_ashrrev_i32_e32 v30, 31, v29
	v_lshlrev_b64 v[29:30], 3, v[29:30]
	v_add_co_u32 v29, vcc_lo, s36, v29
	v_add_co_ci_u32_e64 v30, null, s37, v30, vcc_lo
	global_load_dwordx2 v[29:30], v[29:30], off offset:-8
	s_waitcnt vmcnt(0) lgkmcnt(0)
	s_barrier
	buffer_gl0_inv
	s_and_saveexec_b32 s10, s5
	s_cbranch_execz .LBB20_248
; %bb.246:                              ;   in Loop: Header=BB20_22 Depth=2
	v_cmp_nle_f64_e32 vcc_lo, 0, v[29:30]
	s_mov_b32 s9, 0xbff00000
	s_mov_b32 s84, 0
	v_mov_b32_e32 v2, v0
	s_and_b32 s48, vcc_lo, exec_lo
	s_cselect_b32 s85, s9, 0x3ff00000
	v_div_scale_f64 v[29:30], null, v[27:28], v[27:28], s[84:85]
	v_rcp_f64_e32 v[31:32], v[29:30]
	v_fma_f64 v[33:34], -v[29:30], v[31:32], 1.0
	v_fma_f64 v[31:32], v[31:32], v[33:34], v[31:32]
	v_fma_f64 v[33:34], -v[29:30], v[31:32], 1.0
	v_fma_f64 v[31:32], v[31:32], v[33:34], v[31:32]
	v_div_scale_f64 v[33:34], vcc_lo, s[84:85], v[27:28], s[84:85]
	v_mul_f64 v[35:36], v[33:34], v[31:32]
	v_fma_f64 v[29:30], -v[29:30], v[35:36], v[33:34]
	v_div_fmas_f64 v[29:30], v[29:30], v[31:32], v[35:36]
	v_div_fixup_f64 v[27:28], v[29:30], v[27:28], s[84:85]
	v_mov_b32_e32 v30, v6
	v_mov_b32_e32 v29, v5
	.p2align	6
.LBB20_247:                             ;   Parent Loop BB20_12 Depth=1
                                        ;     Parent Loop BB20_22 Depth=2
                                        ; =>    This Inner Loop Header: Depth=3
	global_load_dwordx2 v[31:32], v[29:30], off
	v_add_nc_u32_e32 v2, 0x100, v2
	v_cmp_lt_i32_e32 vcc_lo, s72, v2
	s_or_b32 s84, vcc_lo, s84
	s_waitcnt vmcnt(0)
	v_mul_f64 v[31:32], v[27:28], v[31:32]
	global_store_dwordx2 v[29:30], v[31:32], off
	v_add_co_u32 v29, s9, 0x800, v29
	v_add_co_ci_u32_e64 v30, null, 0, v30, s9
	s_andn2_b32 exec_lo, exec_lo, s84
	s_cbranch_execnz .LBB20_247
.LBB20_248:                             ;   in Loop: Header=BB20_22 Depth=2
	s_or_b32 exec_lo, exec_lo, s10
	v_mov_b32_e32 v28, v26
	v_mov_b32_e32 v27, v25
	s_waitcnt_vscnt null, 0x0
	s_barrier
	buffer_gl0_inv
	s_and_saveexec_b32 s10, s4
	s_cbranch_execz .LBB20_253
.LBB20_249:                             ;   in Loop: Header=BB20_22 Depth=2
	v_mov_b32_e32 v2, v0
	s_mov_b32 s48, 0
	s_inst_prefetch 0x1
	s_branch .LBB20_251
	.p2align	6
.LBB20_250:                             ;   in Loop: Header=BB20_251 Depth=3
	s_or_b32 exec_lo, exec_lo, s9
	v_add_nc_u32_e32 v29, s35, v2
	v_add_nc_u32_e32 v2, 0x100, v2
	v_ashrrev_i32_e32 v30, 31, v29
	v_cmp_le_i32_e32 vcc_lo, s24, v2
	v_lshlrev_b64 v[29:30], 3, v[29:30]
	s_or_b32 s48, vcc_lo, s48
	v_add_co_u32 v29, s9, s28, v29
	v_add_co_ci_u32_e64 v30, null, s26, v30, s9
	s_waitcnt vmcnt(0)
	global_store_dwordx2 v[29:30], v[25:26], off
	s_andn2_b32 exec_lo, exec_lo, s48
	s_cbranch_execz .LBB20_253
.LBB20_251:                             ;   Parent Loop BB20_12 Depth=1
                                        ;     Parent Loop BB20_22 Depth=2
                                        ; =>    This Inner Loop Header: Depth=3
	v_cmp_le_i32_e32 vcc_lo, s68, v2
	v_cmp_gt_i32_e64 s9, s70, v2
	v_mov_b32_e32 v25, 0
	v_mov_b32_e32 v26, 0
	s_and_b32 s49, vcc_lo, s9
	s_and_saveexec_b32 s9, s49
	s_cbranch_execz .LBB20_250
; %bb.252:                              ;   in Loop: Header=BB20_251 Depth=3
	v_add_nc_u32_e32 v25, s13, v2
	v_mov_b32_e32 v26, v1
	v_lshlrev_b64 v[25:26], 3, v[25:26]
	v_add_co_u32 v25, vcc_lo, s36, v25
	v_add_co_ci_u32_e64 v26, null, s37, v26, vcc_lo
	global_load_dwordx2 v[25:26], v[25:26], off
	s_branch .LBB20_250
.LBB20_253:                             ;   in Loop: Header=BB20_22 Depth=2
	s_inst_prefetch 0x2
	s_or_b32 exec_lo, exec_lo, s10
	s_add_i32 s82, s82, 1
	s_add_i32 s34, s34, 1
	;; [unrolled: 1-line block ×3, first 2 shown]
	s_cmp_ge_i32 s82, s44
	s_waitcnt_vscnt null, 0x0
	s_barrier
	s_cselect_b32 s9, -1, 0
	s_mov_b32 s10, s25
	buffer_gl0_inv
	s_and_b32 vcc_lo, exec_lo, s9
	s_cbranch_vccz .LBB20_22
	s_branch .LBB20_10
.LBB20_254:
	s_and_saveexec_b32 s1, s0
	s_cbranch_execz .LBB20_256
; %bb.255:
	v_mov_b32_e32 v0, 0
	v_readlane_b32 s0, v58, 0
	v_readlane_b32 s1, v58, 1
	ds_read_b32 v1, v0
	s_add_u32 s0, s14, s0
	s_addc_u32 s1, s15, s1
	s_waitcnt lgkmcnt(0)
	global_store_dword v0, v1, s[0:1]
.LBB20_256:
	s_endpgm
	.section	.rodata,"a",@progbits
	.p2align	6, 0x0
	.amdhsa_kernel _ZN9rocsolver6v33100L12stein_kernelIddPdEEviPT0_lS4_lPiS4_lS5_lS5_lT1_iilS5_lS5_S4_S5_S3_S3_
		.amdhsa_group_segment_fixed_size 8
		.amdhsa_private_segment_fixed_size 0
		.amdhsa_kernarg_size 176
		.amdhsa_user_sgpr_count 6
		.amdhsa_user_sgpr_private_segment_buffer 1
		.amdhsa_user_sgpr_dispatch_ptr 0
		.amdhsa_user_sgpr_queue_ptr 0
		.amdhsa_user_sgpr_kernarg_segment_ptr 1
		.amdhsa_user_sgpr_dispatch_id 0
		.amdhsa_user_sgpr_flat_scratch_init 0
		.amdhsa_user_sgpr_private_segment_size 0
		.amdhsa_wavefront_size32 1
		.amdhsa_uses_dynamic_stack 0
		.amdhsa_system_sgpr_private_segment_wavefront_offset 0
		.amdhsa_system_sgpr_workgroup_id_x 1
		.amdhsa_system_sgpr_workgroup_id_y 1
		.amdhsa_system_sgpr_workgroup_id_z 0
		.amdhsa_system_sgpr_workgroup_info 0
		.amdhsa_system_vgpr_workitem_id 0
		.amdhsa_next_free_vgpr 59
		.amdhsa_next_free_sgpr 105
		.amdhsa_reserve_vcc 1
		.amdhsa_reserve_flat_scratch 0
		.amdhsa_float_round_mode_32 0
		.amdhsa_float_round_mode_16_64 0
		.amdhsa_float_denorm_mode_32 3
		.amdhsa_float_denorm_mode_16_64 3
		.amdhsa_dx10_clamp 1
		.amdhsa_ieee_mode 1
		.amdhsa_fp16_overflow 0
		.amdhsa_workgroup_processor_mode 1
		.amdhsa_memory_ordered 1
		.amdhsa_forward_progress 1
		.amdhsa_shared_vgpr_count 0
		.amdhsa_exception_fp_ieee_invalid_op 0
		.amdhsa_exception_fp_denorm_src 0
		.amdhsa_exception_fp_ieee_div_zero 0
		.amdhsa_exception_fp_ieee_overflow 0
		.amdhsa_exception_fp_ieee_underflow 0
		.amdhsa_exception_fp_ieee_inexact 0
		.amdhsa_exception_int_div_zero 0
	.end_amdhsa_kernel
	.section	.text._ZN9rocsolver6v33100L12stein_kernelIddPdEEviPT0_lS4_lPiS4_lS5_lS5_lT1_iilS5_lS5_S4_S5_S3_S3_,"axG",@progbits,_ZN9rocsolver6v33100L12stein_kernelIddPdEEviPT0_lS4_lPiS4_lS5_lS5_lT1_iilS5_lS5_S4_S5_S3_S3_,comdat
.Lfunc_end20:
	.size	_ZN9rocsolver6v33100L12stein_kernelIddPdEEviPT0_lS4_lPiS4_lS5_lS5_lT1_iilS5_lS5_S4_S5_S3_S3_, .Lfunc_end20-_ZN9rocsolver6v33100L12stein_kernelIddPdEEviPT0_lS4_lPiS4_lS5_lS5_lT1_iilS5_lS5_S4_S5_S3_S3_
                                        ; -- End function
	.set _ZN9rocsolver6v33100L12stein_kernelIddPdEEviPT0_lS4_lPiS4_lS5_lS5_lT1_iilS5_lS5_S4_S5_S3_S3_.num_vgpr, 59
	.set _ZN9rocsolver6v33100L12stein_kernelIddPdEEviPT0_lS4_lPiS4_lS5_lS5_lT1_iilS5_lS5_S4_S5_S3_S3_.num_agpr, 0
	.set _ZN9rocsolver6v33100L12stein_kernelIddPdEEviPT0_lS4_lPiS4_lS5_lS5_lT1_iilS5_lS5_S4_S5_S3_S3_.numbered_sgpr, 105
	.set _ZN9rocsolver6v33100L12stein_kernelIddPdEEviPT0_lS4_lPiS4_lS5_lS5_lT1_iilS5_lS5_S4_S5_S3_S3_.num_named_barrier, 0
	.set _ZN9rocsolver6v33100L12stein_kernelIddPdEEviPT0_lS4_lPiS4_lS5_lS5_lT1_iilS5_lS5_S4_S5_S3_S3_.private_seg_size, 0
	.set _ZN9rocsolver6v33100L12stein_kernelIddPdEEviPT0_lS4_lPiS4_lS5_lS5_lT1_iilS5_lS5_S4_S5_S3_S3_.uses_vcc, 1
	.set _ZN9rocsolver6v33100L12stein_kernelIddPdEEviPT0_lS4_lPiS4_lS5_lS5_lT1_iilS5_lS5_S4_S5_S3_S3_.uses_flat_scratch, 0
	.set _ZN9rocsolver6v33100L12stein_kernelIddPdEEviPT0_lS4_lPiS4_lS5_lS5_lT1_iilS5_lS5_S4_S5_S3_S3_.has_dyn_sized_stack, 0
	.set _ZN9rocsolver6v33100L12stein_kernelIddPdEEviPT0_lS4_lPiS4_lS5_lS5_lT1_iilS5_lS5_S4_S5_S3_S3_.has_recursion, 0
	.set _ZN9rocsolver6v33100L12stein_kernelIddPdEEviPT0_lS4_lPiS4_lS5_lS5_lT1_iilS5_lS5_S4_S5_S3_S3_.has_indirect_call, 0
	.section	.AMDGPU.csdata,"",@progbits
; Kernel info:
; codeLenInByte = 11340
; TotalNumSgprs: 107
; NumVgprs: 59
; ScratchSize: 0
; MemoryBound: 1
; FloatMode: 240
; IeeeMode: 1
; LDSByteSize: 8 bytes/workgroup (compile time only)
; SGPRBlocks: 0
; VGPRBlocks: 7
; NumSGPRsForWavesPerEU: 107
; NumVGPRsForWavesPerEU: 59
; Occupancy: 16
; WaveLimiterHint : 1
; COMPUTE_PGM_RSRC2:SCRATCH_EN: 0
; COMPUTE_PGM_RSRC2:USER_SGPR: 6
; COMPUTE_PGM_RSRC2:TRAP_HANDLER: 0
; COMPUTE_PGM_RSRC2:TGID_X_EN: 1
; COMPUTE_PGM_RSRC2:TGID_Y_EN: 1
; COMPUTE_PGM_RSRC2:TGID_Z_EN: 0
; COMPUTE_PGM_RSRC2:TIDIG_COMP_CNT: 0
	.section	.text._ZN9rocsolver6v33100L15syevx_sort_eigsIddPdEEviPiPT0_lT1_iilS3_lS3_S3_,"axG",@progbits,_ZN9rocsolver6v33100L15syevx_sort_eigsIddPdEEviPiPT0_lT1_iilS3_lS3_S3_,comdat
	.globl	_ZN9rocsolver6v33100L15syevx_sort_eigsIddPdEEviPiPT0_lT1_iilS3_lS3_S3_ ; -- Begin function _ZN9rocsolver6v33100L15syevx_sort_eigsIddPdEEviPiPT0_lT1_iilS3_lS3_S3_
	.p2align	8
	.type	_ZN9rocsolver6v33100L15syevx_sort_eigsIddPdEEviPiPT0_lT1_iilS3_lS3_S3_,@function
_ZN9rocsolver6v33100L15syevx_sort_eigsIddPdEEviPiPT0_lT1_iilS3_lS3_S3_: ; @_ZN9rocsolver6v33100L15syevx_sort_eigsIddPdEEviPiPT0_lT1_iilS3_lS3_S3_
; %bb.0:
	s_add_u32 s6, s6, s10
	s_addc_u32 s7, s7, 0
	s_mov_b32 s32, 0
	s_setreg_b32 hwreg(HW_REG_FLAT_SCR_LO), s6
	s_setreg_b32 hwreg(HW_REG_FLAT_SCR_HI), s7
	s_load_dwordx8 s[36:43], s[4:5], 0x8
	s_mov_b32 s24, s9
	s_mov_b32 s25, 0
	s_add_u32 s0, s0, s10
	s_addc_u32 s1, s1, 0
	s_load_dwordx8 s[44:51], s[4:5], 0x30
	s_lshl_b64 s[6:7], s[24:25], 2
	s_mov_b64 s[22:23], s[4:5]
	s_mov_b64 s[26:27], 0
	s_waitcnt lgkmcnt(0)
	s_add_u32 s8, s36, s6
	s_addc_u32 s9, s37, s7
	s_load_dwordx2 s[4:5], s[4:5], 0x50
	s_load_dword s21, s[8:9], 0x0
	s_add_u32 s6, s50, s6
	s_addc_u32 s7, s51, s7
	s_cmp_eq_u64 s[46:47], 0
	s_cbranch_scc1 .LBB21_2
; %bb.1:
	s_mul_i32 s8, s49, s24
	s_mul_hi_u32 s9, s48, s24
	s_add_i32 s9, s9, s8
	s_mul_i32 s8, s48, s24
	s_lshl_b64 s[8:9], s[8:9], 2
	s_add_u32 s26, s46, s8
	s_addc_u32 s27, s47, s9
.LBB21_2:
	s_load_dword s35, s[22:23], 0x0
	s_mov_b32 s8, -1
	s_waitcnt lgkmcnt(0)
	s_cmp_le_i32 s21, s35
	s_cbranch_scc1 .LBB21_6
; %bb.3:
	s_and_b32 vcc_lo, exec_lo, s8
	s_cbranch_vccnz .LBB21_80
.LBB21_4:
	s_and_saveexec_b32 s4, s25
	s_cbranch_execnz .LBB21_81
.LBB21_5:
	s_endpgm
.LBB21_6:
	s_cmp_lg_u64 s[4:5], 0
	s_cbranch_scc0 .LBB21_28
; %bb.7:
	s_load_dwordx2 s[8:9], s[22:23], 0x64
	s_load_dword s36, s[6:7], 0x0
	s_mul_i32 s28, s35, s24
	s_mov_b32 s29, 0
	s_waitcnt lgkmcnt(0)
	s_lshl_b64 s[6:7], s[28:29], 2
	s_barrier
	buffer_gl0_inv
	s_and_b32 s9, s9, 0xffff
	s_lshr_b32 s10, s8, 16
	s_and_b32 s8, s8, 0xffff
	s_and_b32 s9, s9, 0xffff
	s_add_u32 s28, s4, s6
	s_addc_u32 s34, s5, s7
	s_cmp_gt_i32 s21, 0
	s_mul_i32 s37, s10, s8
	s_cselect_b32 s6, -1, 0
	s_cmp_lg_u64 s[38:39], 0
	v_mul_lo_u32 v42, s37, v2
	s_cselect_b32 s7, -1, 0
	v_mul_u32_u24_e32 v43, s8, v1
	s_and_b32 s6, s7, s6
	s_mul_i32 s37, s37, s9
	s_and_b32 vcc_lo, exec_lo, s6
	s_cbranch_vccz .LBB21_29
; %bb.8:
	v_add3_u32 v41, v43, v0, v42
	s_cmp_lg_u64 s[4:5], 0
	s_cselect_b32 s14, -1, 0
	s_barrier
	v_cmp_gt_u32_e32 vcc_lo, s21, v41
	buffer_gl0_inv
	s_and_b32 s5, s14, vcc_lo
	s_and_saveexec_b32 s4, s5
	s_cbranch_execz .LBB21_11
; %bb.9:
	v_mov_b32_e32 v4, 0
	v_mov_b32_e32 v3, v41
	s_mov_b32 s5, 0
.LBB21_10:                              ; =>This Inner Loop Header: Depth=1
	v_lshlrev_b64 v[5:6], 2, v[3:4]
	v_add_co_u32 v5, vcc_lo, s28, v5
	v_add_co_ci_u32_e64 v6, null, s34, v6, vcc_lo
	global_store_dword v[5:6], v3, off
	v_add_nc_u32_e32 v3, s37, v3
	v_cmp_le_u32_e32 vcc_lo, s21, v3
	s_or_b32 s5, vcc_lo, s5
	s_andn2_b32 exec_lo, exec_lo, s5
	s_cbranch_execnz .LBB21_10
.LBB21_11:
	s_or_b32 exec_lo, exec_lo, s4
	s_mul_i32 s4, s41, s24
	s_mul_hi_u32 s5, s40, s24
	s_mul_i32 s6, s40, s24
	s_add_i32 s7, s5, s4
	v_or3_b32 v1, v1, v2, v0
	s_lshl_b64 s[6:7], s[6:7], 3
	s_mov_b32 s5, 0
	s_add_u32 s12, s38, s6
	s_addc_u32 s13, s39, s7
	s_mov_b32 s15, exec_lo
	s_waitcnt_vscnt null, 0x0
	s_barrier
	buffer_gl0_inv
	v_cmpx_eq_u32_e32 0, v1
	s_cbranch_execz .LBB21_30
; %bb.12:
	v_mov_b32_e32 v5, 0
	s_mov_b32 s6, s5
	s_branch .LBB21_14
.LBB21_13:                              ;   in Loop: Header=BB21_14 Depth=1
	s_add_i32 s6, s6, 1
	s_cmp_eq_u32 s6, 8
	s_cbranch_scc1 .LBB21_30
.LBB21_14:                              ; =>This Loop Header: Depth=1
                                        ;     Child Loop BB21_17 Depth 2
                                        ;       Child Loop BB21_21 Depth 3
	s_mov_b32 s7, s5
	s_getpc_b64 s[8:9]
	s_add_u32 s8, s8, __const._ZN9rocsolver6v33100L20shell_sort_ascendingIdiEEvT0_PT_PS2_.gaps@rel32@lo+4
	s_addc_u32 s9, s9, __const._ZN9rocsolver6v33100L20shell_sort_ascendingIdiEEvT0_PT_PS2_.gaps@rel32@hi+12
	s_lshl_b64 s[10:11], s[6:7], 2
	s_add_u32 s8, s8, s10
	s_addc_u32 s9, s9, s11
	s_load_dword s7, s[8:9], 0x0
	s_waitcnt lgkmcnt(0)
	s_cmp_ge_i32 s7, s21
	s_cbranch_scc1 .LBB21_13
; %bb.15:                               ;   in Loop: Header=BB21_14 Depth=1
	s_mov_b32 s16, 0
	s_mov_b32 s8, s7
	s_branch .LBB21_17
.LBB21_16:                              ;   in Loop: Header=BB21_17 Depth=2
	s_add_i32 s8, s8, 1
	s_add_i32 s16, s16, 1
	s_cmp_ge_i32 s8, s21
	s_cbranch_scc1 .LBB21_13
.LBB21_17:                              ;   Parent Loop BB21_14 Depth=1
                                        ; =>  This Loop Header: Depth=2
                                        ;       Child Loop BB21_21 Depth 3
	s_ashr_i32 s9, s8, 31
	s_lshl_b64 s[10:11], s[8:9], 3
	s_add_u32 s10, s12, s10
	s_addc_u32 s11, s13, s11
	s_andn2_b32 vcc_lo, exec_lo, s14
	global_load_dwordx2 v[1:2], v5, s[10:11]
	s_cbranch_vccnz .LBB21_19
; %bb.18:                               ;   in Loop: Header=BB21_17 Depth=2
	s_lshl_b64 s[10:11], s[8:9], 2
	s_add_u32 s10, s28, s10
	s_addc_u32 s11, s34, s11
	global_load_dword v6, v5, s[10:11]
	s_cmp_lt_i32 s8, s7
	s_mov_b64 s[10:11], s[8:9]
	s_mov_b32 s4, s16
	s_cbranch_scc0 .LBB21_21
	s_branch .LBB21_26
.LBB21_19:                              ;   in Loop: Header=BB21_17 Depth=2
	v_mov_b32_e32 v6, 0
	s_cmp_lt_i32 s8, s7
	s_mov_b64 s[10:11], s[8:9]
	s_mov_b32 s4, s16
	s_cbranch_scc0 .LBB21_21
	s_branch .LBB21_26
	.p2align	6
.LBB21_20:                              ;   in Loop: Header=BB21_21 Depth=3
                                        ; implicit-def: $sgpr9
	s_and_b32 vcc_lo, exec_lo, s11
	s_mov_b32 s4, s9
	s_cbranch_vccnz .LBB21_25
.LBB21_21:                              ;   Parent Loop BB21_14 Depth=1
                                        ;     Parent Loop BB21_17 Depth=2
                                        ; =>    This Inner Loop Header: Depth=3
	s_lshl_b64 s[18:19], s[4:5], 3
	s_add_i32 s10, s7, s4
	s_add_u32 s18, s12, s18
	s_addc_u32 s19, s13, s19
	s_mov_b32 s11, -1
	global_load_dwordx2 v[3:4], v5, s[18:19]
	s_waitcnt vmcnt(0)
	v_cmp_ngt_f64_e32 vcc_lo, v[3:4], v[1:2]
	s_cbranch_vccnz .LBB21_20
; %bb.22:                               ;   in Loop: Header=BB21_21 Depth=3
	s_ashr_i32 s11, s10, 31
	s_lshl_b64 s[18:19], s[10:11], 3
	s_add_u32 s18, s12, s18
	s_addc_u32 s19, s13, s19
	s_andn2_b32 vcc_lo, exec_lo, s14
	global_store_dwordx2 v5, v[3:4], s[18:19]
	s_cbranch_vccnz .LBB21_24
; %bb.23:                               ;   in Loop: Header=BB21_21 Depth=3
	s_lshl_b64 s[10:11], s[10:11], 2
	s_add_u32 s10, s28, s10
	s_addc_u32 s11, s34, s11
	s_lshl_b64 s[18:19], s[4:5], 2
	s_add_u32 s18, s28, s18
	s_addc_u32 s19, s34, s19
	global_load_dword v3, v5, s[18:19]
	s_waitcnt vmcnt(0)
	global_store_dword v5, v3, s[10:11]
.LBB21_24:                              ;   in Loop: Header=BB21_21 Depth=3
	s_sub_i32 s9, s4, s7
	s_cmp_lt_i32 s4, s7
	s_mov_b32 s10, s4
	s_cselect_b32 s11, -1, 0
	s_and_b32 vcc_lo, exec_lo, s11
	s_mov_b32 s4, s9
	s_cbranch_vccz .LBB21_21
.LBB21_25:                              ;   in Loop: Header=BB21_17 Depth=2
	s_ashr_i32 s11, s10, 31
.LBB21_26:                              ;   in Loop: Header=BB21_17 Depth=2
	s_lshl_b64 s[18:19], s[10:11], 3
	s_add_u32 s18, s12, s18
	s_addc_u32 s19, s13, s19
	s_andn2_b32 vcc_lo, exec_lo, s14
	s_waitcnt vmcnt(0)
	global_store_dwordx2 v5, v[1:2], s[18:19]
	s_cbranch_vccnz .LBB21_16
; %bb.27:                               ;   in Loop: Header=BB21_17 Depth=2
	s_lshl_b64 s[10:11], s[10:11], 2
	s_add_u32 s10, s28, s10
	s_addc_u32 s11, s34, s11
	global_store_dword v5, v6, s[10:11]
	s_branch .LBB21_16
.LBB21_28:
	s_cbranch_execnz .LBB21_78
	s_branch .LBB21_79
.LBB21_29:
                                        ; implicit-def: $vgpr41
                                        ; implicit-def: $vgpr3
	s_cbranch_execnz .LBB21_45
	s_branch .LBB21_46
.LBB21_30:
	s_or_b32 exec_lo, exec_lo, s15
	s_cmp_lt_u32 s21, 2
	s_mov_b32 s29, 0
	s_cselect_b32 s7, -1, 0
	s_waitcnt_vscnt null, 0x0
	s_and_b32 vcc_lo, exec_lo, s7
	s_barrier
	buffer_gl0_inv
	s_cbranch_vccnz .LBB21_38
; %bb.31:
	s_add_i32 s6, s21, -1
	s_mov_b32 s7, -1
	s_mov_b32 s4, 0
	s_mov_b32 s5, exec_lo
	v_cmpx_gt_u32_e64 s6, v41
	s_cbranch_execz .LBB21_40
; %bb.32:
	v_mov_b32_e32 v2, 0
	v_mov_b32_e32 v1, v41
	s_mov_b32 s7, 0
                                        ; implicit-def: $sgpr8
	s_inst_prefetch 0x1
	s_branch .LBB21_34
	.p2align	6
.LBB21_33:                              ;   in Loop: Header=BB21_34 Depth=1
	s_or_b32 exec_lo, exec_lo, s11
	s_xor_b32 s9, s10, -1
	s_and_b32 s4, exec_lo, s4
	s_or_b32 s7, s4, s7
	s_andn2_b32 s4, s8, exec_lo
	s_and_b32 s8, s9, exec_lo
	s_or_b32 s8, s4, s8
	s_andn2_b32 exec_lo, exec_lo, s7
	s_cbranch_execz .LBB21_39
.LBB21_34:                              ; =>This Inner Loop Header: Depth=1
	v_lshlrev_b64 v[3:4], 3, v[1:2]
	s_mov_b32 s10, exec_lo
	v_add_co_u32 v3, vcc_lo, s12, v3
	v_add_co_ci_u32_e64 v4, null, s13, v4, vcc_lo
	global_load_dwordx2 v[5:6], v[3:4], off
	s_waitcnt vmcnt(0)
	v_cmp_u_f64_e64 s9, v[5:6], v[5:6]
	v_cmpx_o_f64_e32 v[5:6], v[5:6]
	s_cbranch_execz .LBB21_36
; %bb.35:                               ;   in Loop: Header=BB21_34 Depth=1
	global_load_dwordx2 v[3:4], v[3:4], off offset:8
	s_andn2_b32 s9, s9, exec_lo
	s_waitcnt vmcnt(0)
	v_cmp_u_f64_e32 vcc_lo, v[3:4], v[3:4]
	v_cmp_le_f64_e64 s4, v[5:6], v[3:4]
	s_or_b32 s4, vcc_lo, s4
	s_and_b32 s4, s4, exec_lo
	s_or_b32 s9, s9, s4
.LBB21_36:                              ;   in Loop: Header=BB21_34 Depth=1
	s_or_b32 exec_lo, exec_lo, s10
	s_mov_b32 s4, -1
	s_mov_b32 s10, -1
	s_and_saveexec_b32 s11, s9
	s_cbranch_execz .LBB21_33
; %bb.37:                               ;   in Loop: Header=BB21_34 Depth=1
	v_add_nc_u32_e32 v1, s37, v1
	s_xor_b32 s10, exec_lo, -1
	v_cmp_le_u32_e32 vcc_lo, s6, v1
	s_orn2_b32 s4, vcc_lo, exec_lo
	s_branch .LBB21_33
.LBB21_38:
	s_mov_b32 s4, 0
	s_and_saveexec_b32 s5, s7
	s_cbranch_execnz .LBB21_41
	s_branch .LBB21_42
.LBB21_39:
	s_inst_prefetch 0x2
	s_or_b32 exec_lo, exec_lo, s7
	s_mov_b32 s4, exec_lo
	s_orn2_b32 s7, s8, exec_lo
.LBB21_40:
	s_or_b32 exec_lo, exec_lo, s5
	s_and_saveexec_b32 s5, s7
	s_cbranch_execz .LBB21_42
.LBB21_41:
	s_mov_b32 s29, exec_lo
	s_barrier
	s_andn2_b32 s4, s4, exec_lo
	buffer_gl0_inv
.LBB21_42:
	s_or_b32 exec_lo, exec_lo, s5
	s_mov_b32 s38, 0
	s_mov_b32 s25, 0
	s_and_saveexec_b32 s5, s4
	s_xor_b32 s39, exec_lo, s5
	s_cbranch_execz .LBB21_44
; %bb.43:
	s_add_u32 s8, s22, 0x58
	s_addc_u32 s9, s23, 0
	s_getpc_b64 s[4:5]
	s_add_u32 s4, s4, .str.7@rel32@lo+4
	s_addc_u32 s5, s5, .str.7@rel32@hi+12
	s_getpc_b64 s[6:7]
	s_add_u32 s6, s6, .str.8@rel32@lo+4
	s_addc_u32 s7, s7, .str.8@rel32@hi+12
	s_getpc_b64 s[10:11]
	s_add_u32 s10, s10, __PRETTY_FUNCTION__._ZN9rocsolver6v33100L20shell_sort_ascendingIdiEEvT0_PT_PS2_@rel32@lo+4
	s_addc_u32 s11, s11, __PRETTY_FUNCTION__._ZN9rocsolver6v33100L20shell_sort_ascendingIdiEEvT0_PT_PS2_@rel32@hi+12
	v_mov_b32_e32 v44, v0
	v_mov_b32_e32 v0, s4
	;; [unrolled: 1-line block ×8, first 2 shown]
	s_getpc_b64 s[12:13]
	s_add_u32 s12, s12, __assert_fail@rel32@lo+4
	s_addc_u32 s13, s13, __assert_fail@rel32@hi+12
	s_swappc_b64 s[30:31], s[12:13]
	v_mov_b32_e32 v0, v44
	s_mov_b32 s25, exec_lo
.LBB21_44:
	s_or_b32 exec_lo, exec_lo, s39
	v_mov_b32_e32 v3, s37
	s_and_b32 vcc_lo, exec_lo, s38
	s_cbranch_vccz .LBB21_46
.LBB21_45:
	v_add3_u32 v41, v43, v0, v42
	v_mov_b32_e32 v3, s37
	s_or_b32 s29, s29, exec_lo
.LBB21_46:
	s_and_saveexec_b32 s37, s29
	s_cbranch_execz .LBB21_77
; %bb.47:
	s_cmp_lt_i32 s21, 1
	s_waitcnt_vscnt null, 0x0
	s_barrier
	buffer_gl0_inv
	s_cbranch_scc1 .LBB21_66
; %bb.48:
	s_load_dwordx2 s[10:11], s[22:23], 0x28
	s_mul_i32 s6, s45, s24
	s_mul_hi_u32 s7, s44, s24
	s_mul_i32 s12, s44, s24
	s_add_i32 s13, s7, s6
	v_cmp_eq_u32_e64 s4, 0, v41
	s_lshl_b64 s[12:13], s[12:13], 3
	v_cmp_gt_i32_e64 s5, s35, v41
	v_cmp_gt_i32_e64 s6, s36, v41
	v_mov_b32_e32 v4, 0
	s_mov_b32 s9, 0
	s_waitcnt lgkmcnt(0)
	s_ashr_i32 s15, s10, 31
	s_mov_b32 s14, s10
	s_add_u32 s7, s42, s12
	s_addc_u32 s8, s43, s13
	s_lshl_b64 s[12:13], s[14:15], 3
	s_mov_b32 s17, s11
	s_add_u32 s7, s7, s12
	s_addc_u32 s16, s8, s13
	s_cmp_lg_u64 s[26:27], 0
	s_mov_b32 s8, s9
	s_cselect_b32 s18, -1, 0
	s_branch .LBB21_50
.LBB21_49:                              ;   in Loop: Header=BB21_50 Depth=1
	s_add_i32 s8, s8, 1
	s_cmp_eq_u32 s8, s21
	s_cbranch_scc1 .LBB21_66
.LBB21_50:                              ; =>This Loop Header: Depth=1
                                        ;     Child Loop BB21_53 Depth 2
                                        ;       Child Loop BB21_57 Depth 3
                                        ;       Child Loop BB21_62 Depth 3
	s_lshl_b64 s[10:11], s[8:9], 2
	s_add_u32 s10, s28, s10
	s_addc_u32 s11, s34, s11
	s_barrier
	buffer_gl0_inv
	global_load_dword v0, v4, s[10:11]
	s_waitcnt vmcnt(0)
	v_cmp_eq_u32_e32 vcc_lo, s8, v0
	v_readfirstlane_b32 s12, v0
	s_cbranch_vccz .LBB21_53
	s_branch .LBB21_49
.LBB21_51:                              ;   in Loop: Header=BB21_53 Depth=2
	s_inst_prefetch 0x2
	s_or_b32 exec_lo, exec_lo, s14
	s_waitcnt_vscnt null, 0x0
	s_barrier
	buffer_gl0_inv
.LBB21_52:                              ;   in Loop: Header=BB21_53 Depth=2
	global_load_dword v0, v4, s[10:11]
	s_waitcnt vmcnt(0)
	v_cmp_ne_u32_e32 vcc_lo, s8, v0
	v_readfirstlane_b32 s12, v0
	s_cbranch_vccz .LBB21_49
.LBB21_53:                              ;   Parent Loop BB21_50 Depth=1
                                        ; =>  This Loop Header: Depth=2
                                        ;       Child Loop BB21_57 Depth 3
                                        ;       Child Loop BB21_62 Depth 3
	s_ashr_i32 s13, s12, 31
	s_lshl_b64 s[14:15], s[12:13], 2
	s_add_u32 s14, s28, s14
	s_addc_u32 s15, s34, s15
	global_load_dword v0, v4, s[14:15]
	s_waitcnt vmcnt(0)
	s_barrier
	buffer_gl0_inv
	v_readfirstlane_b32 s13, v0
	s_and_saveexec_b32 s19, s4
	s_cbranch_execz .LBB21_55
; %bb.54:                               ;   in Loop: Header=BB21_53 Depth=2
	v_mov_b32_e32 v0, s12
	v_mov_b32_e32 v1, s13
	global_store_dword v4, v0, s[14:15]
	global_store_dword v4, v1, s[10:11]
.LBB21_55:                              ;   in Loop: Header=BB21_53 Depth=2
	s_or_b32 exec_lo, exec_lo, s19
	s_waitcnt_vscnt null, 0x0
	s_barrier
	buffer_gl0_inv
	s_barrier
	buffer_gl0_inv
	s_and_saveexec_b32 s14, s5
	s_cbranch_execz .LBB21_58
; %bb.56:                               ;   in Loop: Header=BB21_53 Depth=2
	s_mul_hi_i32 s31, s12, s17
	s_mul_i32 s30, s12, s17
	s_mul_hi_i32 s39, s13, s17
	s_lshl_b64 s[30:31], s[30:31], 3
	s_mul_i32 s38, s13, s17
	s_add_u32 s15, s7, s30
	s_addc_u32 s19, s16, s31
	s_lshl_b64 s[30:31], s[38:39], 3
	v_mov_b32_e32 v0, v41
	s_add_u32 s20, s7, s30
	s_addc_u32 s24, s16, s31
	s_mov_b32 s29, 0
	.p2align	6
.LBB21_57:                              ;   Parent Loop BB21_50 Depth=1
                                        ;     Parent Loop BB21_53 Depth=2
                                        ; =>    This Inner Loop Header: Depth=3
	v_ashrrev_i32_e32 v1, 31, v0
	v_lshlrev_b64 v[1:2], 3, v[0:1]
	v_add_nc_u32_e32 v0, v0, v3
	v_add_co_u32 v5, vcc_lo, s20, v1
	v_add_co_ci_u32_e64 v6, null, s24, v2, vcc_lo
	v_add_co_u32 v1, vcc_lo, s15, v1
	v_add_co_ci_u32_e64 v2, null, s19, v2, vcc_lo
	s_clause 0x1
	global_load_dwordx2 v[7:8], v[5:6], off
	global_load_dwordx2 v[9:10], v[1:2], off
	v_cmp_le_i32_e32 vcc_lo, s35, v0
	s_waitcnt vmcnt(1)
	global_store_dwordx2 v[1:2], v[7:8], off
	s_waitcnt vmcnt(0)
	global_store_dwordx2 v[5:6], v[9:10], off
	s_or_b32 s29, vcc_lo, s29
	s_andn2_b32 exec_lo, exec_lo, s29
	s_cbranch_execnz .LBB21_57
.LBB21_58:                              ;   in Loop: Header=BB21_53 Depth=2
	s_or_b32 exec_lo, exec_lo, s14
	s_and_b32 vcc_lo, exec_lo, s18
	s_waitcnt_vscnt null, 0x0
	s_barrier
	buffer_gl0_inv
	s_cbranch_vccz .LBB21_52
; %bb.59:                               ;   in Loop: Header=BB21_53 Depth=2
	s_barrier
	buffer_gl0_inv
	s_and_saveexec_b32 s14, s6
	s_cbranch_execz .LBB21_51
; %bb.60:                               ;   in Loop: Header=BB21_53 Depth=2
	v_mov_b32_e32 v0, v41
	s_add_i32 s12, s12, 1
	s_add_i32 s13, s13, 1
	s_mov_b32 s15, 0
	s_inst_prefetch 0x1
	s_branch .LBB21_62
	.p2align	6
.LBB21_61:                              ;   in Loop: Header=BB21_62 Depth=3
	s_or_b32 exec_lo, exec_lo, s20
	v_add_nc_u32_e32 v0, v0, v3
	v_cmp_le_i32_e32 vcc_lo, s36, v0
	s_or_b32 s15, vcc_lo, s15
	s_andn2_b32 exec_lo, exec_lo, s15
	s_cbranch_execz .LBB21_51
.LBB21_62:                              ;   Parent Loop BB21_50 Depth=1
                                        ;     Parent Loop BB21_53 Depth=2
                                        ; =>    This Inner Loop Header: Depth=3
	v_ashrrev_i32_e32 v1, 31, v0
	v_mov_b32_e32 v5, s13
	s_mov_b32 s20, exec_lo
	v_lshlrev_b64 v[1:2], 2, v[0:1]
	v_add_co_u32 v1, vcc_lo, s26, v1
	v_add_co_ci_u32_e64 v2, null, s27, v2, vcc_lo
	global_load_dword v6, v[1:2], off
	s_waitcnt vmcnt(0)
	v_cmp_eq_u32_e64 s19, s12, v6
	v_cmpx_ne_u32_e64 s12, v6
; %bb.63:                               ;   in Loop: Header=BB21_62 Depth=3
	v_cmp_eq_u32_e32 vcc_lo, s13, v6
	v_mov_b32_e32 v5, s12
	s_andn2_b32 s19, s19, exec_lo
	s_and_b32 s24, vcc_lo, exec_lo
	s_or_b32 s19, s19, s24
; %bb.64:                               ;   in Loop: Header=BB21_62 Depth=3
	s_or_b32 exec_lo, exec_lo, s20
	s_and_saveexec_b32 s20, s19
	s_cbranch_execz .LBB21_61
; %bb.65:                               ;   in Loop: Header=BB21_62 Depth=3
	global_store_dword v[1:2], v5, off
	s_branch .LBB21_61
.LBB21_66:
	s_mov_b32 s6, -1
	s_mov_b32 s5, 0
	s_mov_b32 s4, exec_lo
	s_barrier
	buffer_gl0_inv
	v_cmpx_gt_u32_e64 s21, v41
	s_cbranch_execz .LBB21_72
; %bb.67:
	v_mov_b32_e32 v42, 0
                                        ; implicit-def: $sgpr6
                                        ; implicit-def: $sgpr8
                                        ; implicit-def: $sgpr7
	s_inst_prefetch 0x1
	s_branch .LBB21_69
	.p2align	6
.LBB21_68:                              ;   in Loop: Header=BB21_69 Depth=1
	s_or_b32 exec_lo, exec_lo, s9
	s_xor_b32 s9, s7, -1
	s_and_b32 s10, exec_lo, s8
	s_or_b32 s5, s10, s5
	s_andn2_b32 s6, s6, exec_lo
	s_and_b32 s9, s9, exec_lo
	s_or_b32 s6, s6, s9
	s_andn2_b32 exec_lo, exec_lo, s5
	s_cbranch_execz .LBB21_71
.LBB21_69:                              ; =>This Inner Loop Header: Depth=1
	v_lshlrev_b64 v[0:1], 2, v[41:42]
	s_or_b32 s7, s7, exec_lo
	s_or_b32 s8, s8, exec_lo
	s_mov_b32 s9, exec_lo
	v_add_co_u32 v0, vcc_lo, s28, v0
	v_add_co_ci_u32_e64 v1, null, s34, v1, vcc_lo
	global_load_dword v0, v[0:1], off
	s_waitcnt vmcnt(0)
	v_cmpx_eq_u32_e64 v41, v0
	s_cbranch_execz .LBB21_68
; %bb.70:                               ;   in Loop: Header=BB21_69 Depth=1
	v_add_nc_u32_e32 v41, v41, v3
	s_andn2_b32 s8, s8, exec_lo
	s_andn2_b32 s7, s7, exec_lo
	v_cmp_le_u32_e32 vcc_lo, s21, v41
	s_and_b32 s10, vcc_lo, exec_lo
	s_or_b32 s8, s8, s10
	s_branch .LBB21_68
.LBB21_71:
	s_inst_prefetch 0x2
	s_or_b32 exec_lo, exec_lo, s5
	s_mov_b32 s5, exec_lo
	s_orn2_b32 s6, s6, exec_lo
.LBB21_72:
	s_or_b32 exec_lo, exec_lo, s4
	s_and_saveexec_b32 s4, s6
	s_cbranch_execz .LBB21_74
; %bb.73:
	s_andn2_b32 s5, s5, exec_lo
	s_barrier
	buffer_gl0_inv
	s_barrier
	buffer_gl0_inv
.LBB21_74:
	s_or_b32 exec_lo, exec_lo, s4
	s_mov_b32 s4, s25
	s_and_saveexec_b32 s6, s5
	s_xor_b32 s21, exec_lo, s6
	s_cbranch_execz .LBB21_76
; %bb.75:
	s_add_u32 s8, s22, 0x58
	s_addc_u32 s9, s23, 0
	s_getpc_b64 s[4:5]
	s_add_u32 s4, s4, .str.10@rel32@lo+4
	s_addc_u32 s5, s5, .str.10@rel32@hi+12
	s_getpc_b64 s[6:7]
	s_add_u32 s6, s6, .str.5@rel32@lo+4
	s_addc_u32 s7, s7, .str.5@rel32@hi+12
	s_getpc_b64 s[10:11]
	s_add_u32 s10, s10, __PRETTY_FUNCTION__._ZN9rocsolver6v33100L18syevx_permute_swapIdEEviiiPiPT_iS2_@rel32@lo+4
	s_addc_u32 s11, s11, __PRETTY_FUNCTION__._ZN9rocsolver6v33100L18syevx_permute_swapIdEEviiiPiPT_iS2_@rel32@hi+12
	v_mov_b32_e32 v0, s4
	v_mov_b32_e32 v1, s5
	;; [unrolled: 1-line block ×7, first 2 shown]
	s_getpc_b64 s[12:13]
	s_add_u32 s12, s12, __assert_fail@rel32@lo+4
	s_addc_u32 s13, s13, __assert_fail@rel32@hi+12
	s_swappc_b64 s[30:31], s[12:13]
	s_or_b32 s4, s25, exec_lo
.LBB21_76:
	s_or_b32 exec_lo, exec_lo, s21
	s_andn2_b32 s5, s25, exec_lo
	s_and_b32 s4, s4, exec_lo
	s_or_b32 s25, s5, s4
.LBB21_77:
	s_or_b32 exec_lo, exec_lo, s37
	s_branch .LBB21_79
.LBB21_78:
	s_add_u32 s8, s22, 0x58
	s_addc_u32 s9, s23, 0
	s_getpc_b64 s[4:5]
	s_add_u32 s4, s4, .str.6@rel32@lo+4
	s_addc_u32 s5, s5, .str.6@rel32@hi+12
	s_getpc_b64 s[6:7]
	s_add_u32 s6, s6, .str.5@rel32@lo+4
	s_addc_u32 s7, s7, .str.5@rel32@hi+12
	s_getpc_b64 s[10:11]
	s_add_u32 s10, s10, __PRETTY_FUNCTION__._ZN9rocsolver6v33100L15syevx_sort_eigsIddPdEEviPiPT0_lT1_iilS3_lS3_S3_@rel32@lo+4
	s_addc_u32 s11, s11, __PRETTY_FUNCTION__._ZN9rocsolver6v33100L15syevx_sort_eigsIddPdEEviPiPT0_lT1_iilS3_lS3_S3_@rel32@hi+12
	v_mov_b32_e32 v0, s4
	v_mov_b32_e32 v1, s5
	;; [unrolled: 1-line block ×7, first 2 shown]
	s_getpc_b64 s[12:13]
	s_add_u32 s12, s12, __assert_fail@rel32@lo+4
	s_addc_u32 s13, s13, __assert_fail@rel32@hi+12
	s_swappc_b64 s[30:31], s[12:13]
	s_or_b32 s25, s25, exec_lo
.LBB21_79:
	s_branch .LBB21_4
.LBB21_80:
	s_add_u32 s8, s22, 0x58
	s_addc_u32 s9, s23, 0
	s_getpc_b64 s[4:5]
	s_add_u32 s4, s4, .str.4@rel32@lo+4
	s_addc_u32 s5, s5, .str.4@rel32@hi+12
	s_getpc_b64 s[6:7]
	s_add_u32 s6, s6, .str.5@rel32@lo+4
	s_addc_u32 s7, s7, .str.5@rel32@hi+12
	s_getpc_b64 s[10:11]
	s_add_u32 s10, s10, __PRETTY_FUNCTION__._ZN9rocsolver6v33100L15syevx_sort_eigsIddPdEEviPiPT0_lT1_iilS3_lS3_S3_@rel32@lo+4
	s_addc_u32 s11, s11, __PRETTY_FUNCTION__._ZN9rocsolver6v33100L15syevx_sort_eigsIddPdEEviPiPT0_lT1_iilS3_lS3_S3_@rel32@hi+12
	v_mov_b32_e32 v0, s4
	v_mov_b32_e32 v1, s5
	;; [unrolled: 1-line block ×7, first 2 shown]
	s_getpc_b64 s[12:13]
	s_add_u32 s12, s12, __assert_fail@rel32@lo+4
	s_addc_u32 s13, s13, __assert_fail@rel32@hi+12
	s_swappc_b64 s[30:31], s[12:13]
	s_or_b32 s25, s25, exec_lo
	s_and_saveexec_b32 s4, s25
	s_cbranch_execz .LBB21_5
.LBB21_81:
	; divergent unreachable
	s_endpgm
	.section	.rodata,"a",@progbits
	.p2align	6, 0x0
	.amdhsa_kernel _ZN9rocsolver6v33100L15syevx_sort_eigsIddPdEEviPiPT0_lT1_iilS3_lS3_S3_
		.amdhsa_group_segment_fixed_size 0
		.amdhsa_private_segment_fixed_size 64
		.amdhsa_kernarg_size 344
		.amdhsa_user_sgpr_count 8
		.amdhsa_user_sgpr_private_segment_buffer 1
		.amdhsa_user_sgpr_dispatch_ptr 0
		.amdhsa_user_sgpr_queue_ptr 0
		.amdhsa_user_sgpr_kernarg_segment_ptr 1
		.amdhsa_user_sgpr_dispatch_id 0
		.amdhsa_user_sgpr_flat_scratch_init 1
		.amdhsa_user_sgpr_private_segment_size 0
		.amdhsa_wavefront_size32 1
		.amdhsa_uses_dynamic_stack 0
		.amdhsa_system_sgpr_private_segment_wavefront_offset 1
		.amdhsa_system_sgpr_workgroup_id_x 1
		.amdhsa_system_sgpr_workgroup_id_y 1
		.amdhsa_system_sgpr_workgroup_id_z 0
		.amdhsa_system_sgpr_workgroup_info 0
		.amdhsa_system_vgpr_workitem_id 2
		.amdhsa_next_free_vgpr 52
		.amdhsa_next_free_sgpr 52
		.amdhsa_reserve_vcc 1
		.amdhsa_reserve_flat_scratch 1
		.amdhsa_float_round_mode_32 0
		.amdhsa_float_round_mode_16_64 0
		.amdhsa_float_denorm_mode_32 3
		.amdhsa_float_denorm_mode_16_64 3
		.amdhsa_dx10_clamp 1
		.amdhsa_ieee_mode 1
		.amdhsa_fp16_overflow 0
		.amdhsa_workgroup_processor_mode 1
		.amdhsa_memory_ordered 1
		.amdhsa_forward_progress 1
		.amdhsa_shared_vgpr_count 0
		.amdhsa_exception_fp_ieee_invalid_op 0
		.amdhsa_exception_fp_denorm_src 0
		.amdhsa_exception_fp_ieee_div_zero 0
		.amdhsa_exception_fp_ieee_overflow 0
		.amdhsa_exception_fp_ieee_underflow 0
		.amdhsa_exception_fp_ieee_inexact 0
		.amdhsa_exception_int_div_zero 0
	.end_amdhsa_kernel
	.section	.text._ZN9rocsolver6v33100L15syevx_sort_eigsIddPdEEviPiPT0_lT1_iilS3_lS3_S3_,"axG",@progbits,_ZN9rocsolver6v33100L15syevx_sort_eigsIddPdEEviPiPT0_lT1_iilS3_lS3_S3_,comdat
.Lfunc_end21:
	.size	_ZN9rocsolver6v33100L15syevx_sort_eigsIddPdEEviPiPT0_lT1_iilS3_lS3_S3_, .Lfunc_end21-_ZN9rocsolver6v33100L15syevx_sort_eigsIddPdEEviPiPT0_lT1_iilS3_lS3_S3_
                                        ; -- End function
	.set _ZN9rocsolver6v33100L15syevx_sort_eigsIddPdEEviPiPT0_lT1_iilS3_lS3_S3_.num_vgpr, max(45, .L__assert_fail.num_vgpr)
	.set _ZN9rocsolver6v33100L15syevx_sort_eigsIddPdEEviPiPT0_lT1_iilS3_lS3_S3_.num_agpr, max(0, .L__assert_fail.num_agpr)
	.set _ZN9rocsolver6v33100L15syevx_sort_eigsIddPdEEviPiPT0_lT1_iilS3_lS3_S3_.numbered_sgpr, max(52, .L__assert_fail.numbered_sgpr)
	.set _ZN9rocsolver6v33100L15syevx_sort_eigsIddPdEEviPiPT0_lT1_iilS3_lS3_S3_.num_named_barrier, max(0, .L__assert_fail.num_named_barrier)
	.set _ZN9rocsolver6v33100L15syevx_sort_eigsIddPdEEviPiPT0_lT1_iilS3_lS3_S3_.private_seg_size, 0+max(.L__assert_fail.private_seg_size)
	.set _ZN9rocsolver6v33100L15syevx_sort_eigsIddPdEEviPiPT0_lT1_iilS3_lS3_S3_.uses_vcc, or(1, .L__assert_fail.uses_vcc)
	.set _ZN9rocsolver6v33100L15syevx_sort_eigsIddPdEEviPiPT0_lT1_iilS3_lS3_S3_.uses_flat_scratch, or(1, .L__assert_fail.uses_flat_scratch)
	.set _ZN9rocsolver6v33100L15syevx_sort_eigsIddPdEEviPiPT0_lT1_iilS3_lS3_S3_.has_dyn_sized_stack, or(0, .L__assert_fail.has_dyn_sized_stack)
	.set _ZN9rocsolver6v33100L15syevx_sort_eigsIddPdEEviPiPT0_lT1_iilS3_lS3_S3_.has_recursion, or(0, .L__assert_fail.has_recursion)
	.set _ZN9rocsolver6v33100L15syevx_sort_eigsIddPdEEviPiPT0_lT1_iilS3_lS3_S3_.has_indirect_call, or(0, .L__assert_fail.has_indirect_call)
	.section	.AMDGPU.csdata,"",@progbits
; Kernel info:
; codeLenInByte = 2940
; TotalNumSgprs: 54
; NumVgprs: 52
; ScratchSize: 64
; MemoryBound: 0
; FloatMode: 240
; IeeeMode: 1
; LDSByteSize: 0 bytes/workgroup (compile time only)
; SGPRBlocks: 0
; VGPRBlocks: 6
; NumSGPRsForWavesPerEU: 54
; NumVGPRsForWavesPerEU: 52
; Occupancy: 16
; WaveLimiterHint : 1
; COMPUTE_PGM_RSRC2:SCRATCH_EN: 1
; COMPUTE_PGM_RSRC2:USER_SGPR: 8
; COMPUTE_PGM_RSRC2:TRAP_HANDLER: 0
; COMPUTE_PGM_RSRC2:TGID_X_EN: 1
; COMPUTE_PGM_RSRC2:TGID_Y_EN: 1
; COMPUTE_PGM_RSRC2:TGID_Z_EN: 0
; COMPUTE_PGM_RSRC2:TIDIG_COMP_CNT: 2
	.section	.text._ZN9rocsolver6v33100L19bdsvdx_reorder_vectIdPdEEv13rocblas_fill_iPiPT_lT0_iilS6_,"axG",@progbits,_ZN9rocsolver6v33100L19bdsvdx_reorder_vectIdPdEEv13rocblas_fill_iPiPT_lT0_iilS6_,comdat
	.globl	_ZN9rocsolver6v33100L19bdsvdx_reorder_vectIdPdEEv13rocblas_fill_iPiPT_lT0_iilS6_ ; -- Begin function _ZN9rocsolver6v33100L19bdsvdx_reorder_vectIdPdEEv13rocblas_fill_iPiPT_lT0_iilS6_
	.p2align	8
	.type	_ZN9rocsolver6v33100L19bdsvdx_reorder_vectIdPdEEv13rocblas_fill_iPiPT_lT0_iilS6_,@function
_ZN9rocsolver6v33100L19bdsvdx_reorder_vectIdPdEEv13rocblas_fill_iPiPT_lT0_iilS6_: ; @_ZN9rocsolver6v33100L19bdsvdx_reorder_vectIdPdEEv13rocblas_fill_iPiPT_lT0_iilS6_
; %bb.0:
	s_load_dwordx8 s[8:15], s[4:5], 0x8
	s_mov_b32 s20, s7
	s_ashr_i32 s21, s7, 31
	s_lshl_b64 s[0:1], s[20:21], 2
	s_waitcnt lgkmcnt(0)
	s_add_u32 s0, s8, s0
	s_addc_u32 s1, s9, s1
	s_load_dwordx2 s[2:3], s[4:5], 0x0
	s_load_dword s22, s[0:1], 0x0
	s_waitcnt lgkmcnt(0)
	s_cmp_le_i32 s22, s3
	s_cbranch_scc1 .LBB22_4
; %bb.1:
	s_mov_b32 s6, exec_lo
	v_cmpx_eq_u32_e32 0, v0
	s_cbranch_execz .LBB22_3
; %bb.2:
	v_mov_b32_e32 v1, 0
	v_mov_b32_e32 v2, s3
	global_store_dword v1, v2, s[0:1]
.LBB22_3:
	s_or_b32 exec_lo, exec_lo, s6
	s_mov_b32 s22, s3
.LBB22_4:
	s_load_dwordx4 s[16:19], s[4:5], 0x30
	s_mul_i32 s0, s20, s3
	s_lshl_b32 s0, s0, 1
	s_ashr_i32 s1, s0, 31
	s_lshl_b64 s[0:1], s[0:1], 3
	s_waitcnt lgkmcnt(0)
	s_add_u32 s18, s18, s0
	s_addc_u32 s19, s19, s1
	s_mov_b32 s1, exec_lo
	v_cmpx_gt_i32_e64 s22, v0
	s_cbranch_execz .LBB22_7
; %bb.5:
	s_load_dword s0, s[4:5], 0x4c
	s_mul_i32 s6, s12, s21
	s_mul_hi_u32 s7, s12, s20
	s_mul_i32 s8, s13, s20
	s_add_i32 s7, s7, s6
	s_mul_i32 s6, s12, s20
	s_add_i32 s7, s7, s8
	v_mov_b32_e32 v1, v0
	s_lshl_b64 s[6:7], s[6:7], 3
	s_mov_b32 s9, 0
	s_add_u32 s6, s10, s6
	s_addc_u32 s7, s11, s7
	s_waitcnt lgkmcnt(0)
	s_and_b32 s8, s0, 0xffff
	.p2align	6
.LBB22_6:                               ; =>This Inner Loop Header: Depth=1
	v_ashrrev_i32_e32 v2, 31, v1
	v_lshlrev_b64 v[2:3], 3, v[1:2]
	v_add_nc_u32_e32 v1, s8, v1
	v_add_co_u32 v4, vcc_lo, s18, v2
	v_add_co_ci_u32_e64 v5, null, s19, v3, vcc_lo
	v_cmp_le_i32_e32 vcc_lo, s22, v1
	v_add_co_u32 v2, s0, s6, v2
	global_load_dwordx2 v[4:5], v[4:5], off
	v_add_co_ci_u32_e64 v3, null, s7, v3, s0
	s_or_b32 s9, vcc_lo, s9
	s_waitcnt vmcnt(0)
	v_xor_b32_e32 v5, 0x80000000, v5
	global_store_dwordx2 v[2:3], v[4:5], off
	s_andn2_b32 exec_lo, exec_lo, s9
	s_cbranch_execnz .LBB22_6
.LBB22_7:
	s_or_b32 exec_lo, exec_lo, s1
	s_cmp_lt_i32 s22, 1
	s_waitcnt_vscnt null, 0x0
	s_barrier
	buffer_gl0_inv
	s_cbranch_scc1 .LBB22_23
; %bb.8:
	s_load_dwordx2 s[6:7], s[4:5], 0x28
	s_mul_i32 s1, s16, s21
	s_mul_hi_u32 s9, s16, s20
	s_mul_i32 s10, s17, s20
	s_add_i32 s1, s9, s1
	s_mul_i32 s8, s16, s20
	s_add_i32 s9, s1, s10
	v_cmp_gt_i32_e64 s0, s3, v0
	s_lshl_b64 s[8:9], s[8:9], 3
	v_lshlrev_b32_e32 v3, 1, v0
	s_mov_b32 s12, 0
	s_mov_b32 s16, s3
	;; [unrolled: 1-line block ×3, first 2 shown]
	s_waitcnt lgkmcnt(0)
	s_ashr_i32 s11, s6, 31
	s_mov_b32 s10, s6
	s_add_u32 s1, s14, s8
	s_addc_u32 s13, s15, s9
	s_lshl_b64 s[10:11], s[10:11], 3
	s_mov_b32 s8, 0x667f3bcd
	s_add_u32 s6, s1, s10
	s_addc_u32 s13, s13, s11
	s_lshl_b32 s14, s3, 1
	s_add_u32 s4, s4, 64
	s_addc_u32 s5, s5, 0
	v_cmp_gt_i32_e64 s1, s14, v0
	s_cmpk_lg_i32 s2, 0x79
	s_mov_b32 s9, 0x3ff6a09e
	s_cselect_b32 s15, -1, 0
	s_mov_b32 s11, 0xbff6a09e
	s_branch .LBB22_11
.LBB22_9:                               ;   in Loop: Header=BB22_11 Depth=1
	s_inst_prefetch 0x2
	s_or_b32 exec_lo, exec_lo, s20
.LBB22_10:                              ;   in Loop: Header=BB22_11 Depth=1
	s_add_i32 s17, s17, 1
	s_add_i32 s12, s12, s7
	;; [unrolled: 1-line block ×3, first 2 shown]
	s_cmp_lg_u32 s17, s22
	s_waitcnt_vscnt null, 0x0
	s_barrier
	buffer_gl0_inv
	s_cbranch_scc0 .LBB22_23
.LBB22_11:                              ; =>This Loop Header: Depth=1
                                        ;     Child Loop BB22_13 Depth 2
                                        ;     Child Loop BB22_17 Depth 2
	;; [unrolled: 1-line block ×3, first 2 shown]
	s_and_saveexec_b32 s10, s1
	s_cbranch_execz .LBB22_14
; %bb.12:                               ;   in Loop: Header=BB22_11 Depth=1
	s_load_dword s2, s[4:5], 0xc
	v_mov_b32_e32 v1, v0
	s_mov_b32 s21, 0
	s_waitcnt lgkmcnt(0)
	s_and_b32 s20, s2, 0xffff
	.p2align	6
.LBB22_13:                              ;   Parent Loop BB22_11 Depth=1
                                        ; =>  This Inner Loop Header: Depth=2
	v_add_nc_u32_e32 v4, s12, v1
	v_ashrrev_i32_e32 v2, 31, v1
	v_ashrrev_i32_e32 v5, 31, v4
	v_lshlrev_b64 v[6:7], 3, v[1:2]
	v_add_nc_u32_e32 v1, s20, v1
	v_lshlrev_b64 v[4:5], 3, v[4:5]
	v_add_co_u32 v6, s2, s18, v6
	v_add_co_ci_u32_e64 v7, null, s19, v7, s2
	v_add_co_u32 v4, vcc_lo, s6, v4
	v_add_co_ci_u32_e64 v5, null, s13, v5, vcc_lo
	v_cmp_le_i32_e32 vcc_lo, s14, v1
	global_load_dwordx2 v[4:5], v[4:5], off
	s_or_b32 s21, vcc_lo, s21
	s_waitcnt vmcnt(0)
	global_store_dwordx2 v[6:7], v[4:5], off
	s_andn2_b32 exec_lo, exec_lo, s21
	s_cbranch_execnz .LBB22_13
.LBB22_14:                              ;   in Loop: Header=BB22_11 Depth=1
	s_or_b32 exec_lo, exec_lo, s10
	s_andn2_b32 vcc_lo, exec_lo, s15
	s_mov_b32 s2, -1
	s_waitcnt_vscnt null, 0x0
	s_barrier
	buffer_gl0_inv
	s_cbranch_vccnz .LBB22_19
; %bb.15:                               ;   in Loop: Header=BB22_11 Depth=1
	s_and_saveexec_b32 s20, s0
	s_cbranch_execz .LBB22_18
; %bb.16:                               ;   in Loop: Header=BB22_11 Depth=1
	s_load_dword s2, s[4:5], 0xc
	v_mov_b32_e32 v1, v3
	v_mov_b32_e32 v4, v0
	s_mov_b32 s24, 0
	s_waitcnt lgkmcnt(0)
	s_and_b32 s21, s2, 0xffff
	s_lshl_b32 s23, s21, 1
	s_inst_prefetch 0x1
	.p2align	6
.LBB22_17:                              ;   Parent Loop BB22_11 Depth=1
                                        ; =>  This Inner Loop Header: Depth=2
	v_ashrrev_i32_e32 v2, 31, v1
	v_add_nc_u32_e32 v9, s12, v4
	s_mov_b32 s10, s8
	v_lshlrev_b64 v[5:6], 3, v[1:2]
	v_ashrrev_i32_e32 v10, 31, v9
	v_add_nc_u32_e32 v1, s23, v1
	v_lshlrev_b64 v[9:10], 3, v[9:10]
	v_add_co_u32 v5, vcc_lo, s18, v5
	v_add_co_ci_u32_e64 v6, null, s19, v6, vcc_lo
	v_add_co_u32 v9, vcc_lo, s6, v9
	global_load_dwordx2 v[7:8], v[5:6], off
	v_add_co_ci_u32_e64 v10, null, s13, v10, vcc_lo
	s_waitcnt vmcnt(0)
	v_mul_f64 v[7:8], v[7:8], s[8:9]
	global_store_dwordx2 v[9:10], v[7:8], off
	global_load_dwordx2 v[5:6], v[5:6], off offset:8
	v_add_nc_u32_e32 v7, s16, v4
	v_add_nc_u32_e32 v4, s21, v4
	v_ashrrev_i32_e32 v8, 31, v7
	v_cmp_le_i32_e32 vcc_lo, s3, v4
	v_lshlrev_b64 v[7:8], 3, v[7:8]
	s_or_b32 s24, vcc_lo, s24
	v_add_co_u32 v7, s2, s6, v7
	v_add_co_ci_u32_e64 v8, null, s13, v8, s2
	s_waitcnt vmcnt(0)
	v_mul_f64 v[5:6], v[5:6], s[10:11]
	global_store_dwordx2 v[7:8], v[5:6], off
	s_andn2_b32 exec_lo, exec_lo, s24
	s_cbranch_execnz .LBB22_17
.LBB22_18:                              ;   in Loop: Header=BB22_11 Depth=1
	s_inst_prefetch 0x2
	s_or_b32 exec_lo, exec_lo, s20
	s_mov_b32 s2, 0
.LBB22_19:                              ;   in Loop: Header=BB22_11 Depth=1
	s_andn2_b32 vcc_lo, exec_lo, s2
	s_cbranch_vccnz .LBB22_10
; %bb.20:                               ;   in Loop: Header=BB22_11 Depth=1
	s_and_saveexec_b32 s20, s0
	s_cbranch_execz .LBB22_9
; %bb.21:                               ;   in Loop: Header=BB22_11 Depth=1
	s_load_dword s2, s[4:5], 0xc
	v_mov_b32_e32 v1, v3
	v_mov_b32_e32 v4, v0
	s_mov_b32 s24, 0
	s_waitcnt lgkmcnt(0)
	s_and_b32 s21, s2, 0xffff
	s_lshl_b32 s23, s21, 1
	s_inst_prefetch 0x1
	.p2align	6
.LBB22_22:                              ;   Parent Loop BB22_11 Depth=1
                                        ; =>  This Inner Loop Header: Depth=2
	v_ashrrev_i32_e32 v2, 31, v1
	v_add_nc_u32_e32 v9, s12, v4
	s_mov_b32 s10, s8
	v_lshlrev_b64 v[5:6], 3, v[1:2]
	v_ashrrev_i32_e32 v10, 31, v9
	v_add_nc_u32_e32 v1, s23, v1
	v_lshlrev_b64 v[9:10], 3, v[9:10]
	v_add_co_u32 v5, vcc_lo, s18, v5
	v_add_co_ci_u32_e64 v6, null, s19, v6, vcc_lo
	v_add_co_u32 v9, vcc_lo, s6, v9
	global_load_dwordx2 v[7:8], v[5:6], off offset:8
	v_add_co_ci_u32_e64 v10, null, s13, v10, vcc_lo
	s_waitcnt vmcnt(0)
	v_mul_f64 v[7:8], v[7:8], s[8:9]
	global_store_dwordx2 v[9:10], v[7:8], off
	global_load_dwordx2 v[5:6], v[5:6], off
	v_add_nc_u32_e32 v7, s16, v4
	v_add_nc_u32_e32 v4, s21, v4
	v_ashrrev_i32_e32 v8, 31, v7
	v_cmp_le_i32_e32 vcc_lo, s3, v4
	v_lshlrev_b64 v[7:8], 3, v[7:8]
	s_or_b32 s24, vcc_lo, s24
	v_add_co_u32 v7, s2, s6, v7
	v_add_co_ci_u32_e64 v8, null, s13, v8, s2
	s_waitcnt vmcnt(0)
	v_mul_f64 v[5:6], v[5:6], s[10:11]
	global_store_dwordx2 v[7:8], v[5:6], off
	s_andn2_b32 exec_lo, exec_lo, s24
	s_cbranch_execnz .LBB22_22
	s_branch .LBB22_9
.LBB22_23:
	s_endpgm
	.section	.rodata,"a",@progbits
	.p2align	6, 0x0
	.amdhsa_kernel _ZN9rocsolver6v33100L19bdsvdx_reorder_vectIdPdEEv13rocblas_fill_iPiPT_lT0_iilS6_
		.amdhsa_group_segment_fixed_size 0
		.amdhsa_private_segment_fixed_size 0
		.amdhsa_kernarg_size 320
		.amdhsa_user_sgpr_count 6
		.amdhsa_user_sgpr_private_segment_buffer 1
		.amdhsa_user_sgpr_dispatch_ptr 0
		.amdhsa_user_sgpr_queue_ptr 0
		.amdhsa_user_sgpr_kernarg_segment_ptr 1
		.amdhsa_user_sgpr_dispatch_id 0
		.amdhsa_user_sgpr_flat_scratch_init 0
		.amdhsa_user_sgpr_private_segment_size 0
		.amdhsa_wavefront_size32 1
		.amdhsa_uses_dynamic_stack 0
		.amdhsa_system_sgpr_private_segment_wavefront_offset 0
		.amdhsa_system_sgpr_workgroup_id_x 1
		.amdhsa_system_sgpr_workgroup_id_y 1
		.amdhsa_system_sgpr_workgroup_id_z 0
		.amdhsa_system_sgpr_workgroup_info 0
		.amdhsa_system_vgpr_workitem_id 0
		.amdhsa_next_free_vgpr 11
		.amdhsa_next_free_sgpr 25
		.amdhsa_reserve_vcc 1
		.amdhsa_reserve_flat_scratch 0
		.amdhsa_float_round_mode_32 0
		.amdhsa_float_round_mode_16_64 0
		.amdhsa_float_denorm_mode_32 3
		.amdhsa_float_denorm_mode_16_64 3
		.amdhsa_dx10_clamp 1
		.amdhsa_ieee_mode 1
		.amdhsa_fp16_overflow 0
		.amdhsa_workgroup_processor_mode 1
		.amdhsa_memory_ordered 1
		.amdhsa_forward_progress 1
		.amdhsa_shared_vgpr_count 0
		.amdhsa_exception_fp_ieee_invalid_op 0
		.amdhsa_exception_fp_denorm_src 0
		.amdhsa_exception_fp_ieee_div_zero 0
		.amdhsa_exception_fp_ieee_overflow 0
		.amdhsa_exception_fp_ieee_underflow 0
		.amdhsa_exception_fp_ieee_inexact 0
		.amdhsa_exception_int_div_zero 0
	.end_amdhsa_kernel
	.section	.text._ZN9rocsolver6v33100L19bdsvdx_reorder_vectIdPdEEv13rocblas_fill_iPiPT_lT0_iilS6_,"axG",@progbits,_ZN9rocsolver6v33100L19bdsvdx_reorder_vectIdPdEEv13rocblas_fill_iPiPT_lT0_iilS6_,comdat
.Lfunc_end22:
	.size	_ZN9rocsolver6v33100L19bdsvdx_reorder_vectIdPdEEv13rocblas_fill_iPiPT_lT0_iilS6_, .Lfunc_end22-_ZN9rocsolver6v33100L19bdsvdx_reorder_vectIdPdEEv13rocblas_fill_iPiPT_lT0_iilS6_
                                        ; -- End function
	.set _ZN9rocsolver6v33100L19bdsvdx_reorder_vectIdPdEEv13rocblas_fill_iPiPT_lT0_iilS6_.num_vgpr, 11
	.set _ZN9rocsolver6v33100L19bdsvdx_reorder_vectIdPdEEv13rocblas_fill_iPiPT_lT0_iilS6_.num_agpr, 0
	.set _ZN9rocsolver6v33100L19bdsvdx_reorder_vectIdPdEEv13rocblas_fill_iPiPT_lT0_iilS6_.numbered_sgpr, 25
	.set _ZN9rocsolver6v33100L19bdsvdx_reorder_vectIdPdEEv13rocblas_fill_iPiPT_lT0_iilS6_.num_named_barrier, 0
	.set _ZN9rocsolver6v33100L19bdsvdx_reorder_vectIdPdEEv13rocblas_fill_iPiPT_lT0_iilS6_.private_seg_size, 0
	.set _ZN9rocsolver6v33100L19bdsvdx_reorder_vectIdPdEEv13rocblas_fill_iPiPT_lT0_iilS6_.uses_vcc, 1
	.set _ZN9rocsolver6v33100L19bdsvdx_reorder_vectIdPdEEv13rocblas_fill_iPiPT_lT0_iilS6_.uses_flat_scratch, 0
	.set _ZN9rocsolver6v33100L19bdsvdx_reorder_vectIdPdEEv13rocblas_fill_iPiPT_lT0_iilS6_.has_dyn_sized_stack, 0
	.set _ZN9rocsolver6v33100L19bdsvdx_reorder_vectIdPdEEv13rocblas_fill_iPiPT_lT0_iilS6_.has_recursion, 0
	.set _ZN9rocsolver6v33100L19bdsvdx_reorder_vectIdPdEEv13rocblas_fill_iPiPT_lT0_iilS6_.has_indirect_call, 0
	.section	.AMDGPU.csdata,"",@progbits
; Kernel info:
; codeLenInByte = 1272
; TotalNumSgprs: 27
; NumVgprs: 11
; ScratchSize: 0
; MemoryBound: 0
; FloatMode: 240
; IeeeMode: 1
; LDSByteSize: 0 bytes/workgroup (compile time only)
; SGPRBlocks: 0
; VGPRBlocks: 1
; NumSGPRsForWavesPerEU: 27
; NumVGPRsForWavesPerEU: 11
; Occupancy: 16
; WaveLimiterHint : 0
; COMPUTE_PGM_RSRC2:SCRATCH_EN: 0
; COMPUTE_PGM_RSRC2:USER_SGPR: 6
; COMPUTE_PGM_RSRC2:TRAP_HANDLER: 0
; COMPUTE_PGM_RSRC2:TGID_X_EN: 1
; COMPUTE_PGM_RSRC2:TGID_Y_EN: 1
; COMPUTE_PGM_RSRC2:TGID_Z_EN: 0
; COMPUTE_PGM_RSRC2:TIDIG_COMP_CNT: 0
	.text
	.p2alignl 6, 3214868480
	.fill 48, 4, 3214868480
	.section	.AMDGPU.gpr_maximums,"",@progbits
	.set amdgpu.max_num_vgpr, 52
	.set amdgpu.max_num_agpr, 0
	.set amdgpu.max_num_sgpr, 34
	.text
	.type	__const.__assert_fail.fmt,@object ; @__const.__assert_fail.fmt
	.section	.rodata.str1.16,"aMS",@progbits,1
	.p2align	4, 0x0
__const.__assert_fail.fmt:
	.asciz	"%s:%u: %s: Device-side assertion `%s' failed.\n"
	.size	__const.__assert_fail.fmt, 47

	.type	.str.4,@object                  ; @.str.4
	.section	.rodata.str1.1,"aMS",@progbits,1
.str.4:
	.asciz	"nev <= n"
	.size	.str.4, 9

	.type	.str.5,@object                  ; @.str.5
.str.5:
	.asciz	"/root/src/amdgpu-assembly/repos/ROCm__rocSOLVER/library/src/lapack/roclapack_syevx_heevx.hpp"
	.size	.str.5, 93

	.type	__PRETTY_FUNCTION__._ZN9rocsolver6v33100L15syevx_sort_eigsIffPfEEviPiPT0_lT1_iilS3_lS3_S3_,@object ; @__PRETTY_FUNCTION__._ZN9rocsolver6v33100L15syevx_sort_eigsIffPfEEviPiPT0_lT1_iilS3_lS3_S3_
__PRETTY_FUNCTION__._ZN9rocsolver6v33100L15syevx_sort_eigsIffPfEEviPiPT0_lT1_iilS3_lS3_S3_:
	.asciz	"void rocsolver::syevx_sort_eigs(const rocblas_int, rocblas_int *, S *, const rocblas_stride, U, const rocblas_int, const rocblas_int, const rocblas_stride, rocblas_int *, const rocblas_stride, rocblas_int *, rocblas_int *) [T = float, S = float, U = float *]"
	.size	__PRETTY_FUNCTION__._ZN9rocsolver6v33100L15syevx_sort_eigsIffPfEEviPiPT0_lT1_iilS3_lS3_S3_, 259

	.type	.str.6,@object                  ; @.str.6
.str.6:
	.asciz	"isplit_map != nullptr"
	.size	.str.6, 22

	.type	__const._ZN9rocsolver6v33100L20shell_sort_ascendingIfiEEvT0_PT_PS2_.gaps,@object ; @__const._ZN9rocsolver6v33100L20shell_sort_ascendingIfiEEvT0_PT_PS2_.gaps
	.section	.rodata.cst32,"aM",@progbits,32
	.p2align	4, 0x0
__const._ZN9rocsolver6v33100L20shell_sort_ascendingIfiEEvT0_PT_PS2_.gaps:
	.long	701                             ; 0x2bd
	.long	301                             ; 0x12d
	;; [unrolled: 1-line block ×3, first 2 shown]
	.long	57                              ; 0x39
	.long	23                              ; 0x17
	;; [unrolled: 1-line block ×3, first 2 shown]
	.long	4                               ; 0x4
	.long	1                               ; 0x1
	.size	__const._ZN9rocsolver6v33100L20shell_sort_ascendingIfiEEvT0_PT_PS2_.gaps, 32

	.type	.str.7,@object                  ; @.str.7
	.section	.rodata.str1.1,"aMS",@progbits,1
.str.7:
	.asciz	"std::isnan(a[k]) || std::isnan(a[k + 1]) || a[k] <= a[k + 1]"
	.size	.str.7, 61

	.type	.str.8,@object                  ; @.str.8
.str.8:
	.asciz	"/root/src/amdgpu-assembly/repos/ROCm__rocSOLVER/library/src/include/lib_device_helpers.hpp"
	.size	.str.8, 91

	.type	__PRETTY_FUNCTION__._ZN9rocsolver6v33100L20shell_sort_ascendingIfiEEvT0_PT_PS2_,@object ; @__PRETTY_FUNCTION__._ZN9rocsolver6v33100L20shell_sort_ascendingIfiEEvT0_PT_PS2_
__PRETTY_FUNCTION__._ZN9rocsolver6v33100L20shell_sort_ascendingIfiEEvT0_PT_PS2_:
	.asciz	"void rocsolver::shell_sort_ascending(const I, S *, I *) [S = float, I = int]"
	.size	__PRETTY_FUNCTION__._ZN9rocsolver6v33100L20shell_sort_ascendingIfiEEvT0_PT_PS2_, 77

	.type	.str.10,@object                 ; @.str.10
.str.10:
	.asciz	"map[k] == k"
	.size	.str.10, 12

	.type	__PRETTY_FUNCTION__._ZN9rocsolver6v33100L18syevx_permute_swapIfEEviiiPiPT_iS2_,@object ; @__PRETTY_FUNCTION__._ZN9rocsolver6v33100L18syevx_permute_swapIfEEviiiPiPT_iS2_
__PRETTY_FUNCTION__._ZN9rocsolver6v33100L18syevx_permute_swapIfEEviiiPiPT_iS2_:
	.asciz	"void rocsolver::syevx_permute_swap(rocblas_int, rocblas_int, rocblas_int, rocblas_int *, T *, rocblas_int, rocblas_int *) [T = float]"
	.size	__PRETTY_FUNCTION__._ZN9rocsolver6v33100L18syevx_permute_swapIfEEviiiPiPT_iS2_, 134

	.type	__PRETTY_FUNCTION__._ZN9rocsolver6v33100L15syevx_sort_eigsIddPdEEviPiPT0_lT1_iilS3_lS3_S3_,@object ; @__PRETTY_FUNCTION__._ZN9rocsolver6v33100L15syevx_sort_eigsIddPdEEviPiPT0_lT1_iilS3_lS3_S3_
__PRETTY_FUNCTION__._ZN9rocsolver6v33100L15syevx_sort_eigsIddPdEEviPiPT0_lT1_iilS3_lS3_S3_:
	.asciz	"void rocsolver::syevx_sort_eigs(const rocblas_int, rocblas_int *, S *, const rocblas_stride, U, const rocblas_int, const rocblas_int, const rocblas_stride, rocblas_int *, const rocblas_stride, rocblas_int *, rocblas_int *) [T = double, S = double, U = double *]"
	.size	__PRETTY_FUNCTION__._ZN9rocsolver6v33100L15syevx_sort_eigsIddPdEEviPiPT0_lT1_iilS3_lS3_S3_, 262

	.type	__const._ZN9rocsolver6v33100L20shell_sort_ascendingIdiEEvT0_PT_PS2_.gaps,@object ; @__const._ZN9rocsolver6v33100L20shell_sort_ascendingIdiEEvT0_PT_PS2_.gaps
	.section	.rodata.cst32,"aM",@progbits,32
	.p2align	4, 0x0
__const._ZN9rocsolver6v33100L20shell_sort_ascendingIdiEEvT0_PT_PS2_.gaps:
	.long	701                             ; 0x2bd
	.long	301                             ; 0x12d
	.long	132                             ; 0x84
	.long	57                              ; 0x39
	.long	23                              ; 0x17
	;; [unrolled: 1-line block ×3, first 2 shown]
	.long	4                               ; 0x4
	.long	1                               ; 0x1
	.size	__const._ZN9rocsolver6v33100L20shell_sort_ascendingIdiEEvT0_PT_PS2_.gaps, 32

	.type	__PRETTY_FUNCTION__._ZN9rocsolver6v33100L20shell_sort_ascendingIdiEEvT0_PT_PS2_,@object ; @__PRETTY_FUNCTION__._ZN9rocsolver6v33100L20shell_sort_ascendingIdiEEvT0_PT_PS2_
	.section	.rodata.str1.1,"aMS",@progbits,1
__PRETTY_FUNCTION__._ZN9rocsolver6v33100L20shell_sort_ascendingIdiEEvT0_PT_PS2_:
	.asciz	"void rocsolver::shell_sort_ascending(const I, S *, I *) [S = double, I = int]"
	.size	__PRETTY_FUNCTION__._ZN9rocsolver6v33100L20shell_sort_ascendingIdiEEvT0_PT_PS2_, 78

	.type	__PRETTY_FUNCTION__._ZN9rocsolver6v33100L18syevx_permute_swapIdEEviiiPiPT_iS2_,@object ; @__PRETTY_FUNCTION__._ZN9rocsolver6v33100L18syevx_permute_swapIdEEviiiPiPT_iS2_
__PRETTY_FUNCTION__._ZN9rocsolver6v33100L18syevx_permute_swapIdEEviiiPiPT_iS2_:
	.asciz	"void rocsolver::syevx_permute_swap(rocblas_int, rocblas_int, rocblas_int, rocblas_int *, T *, rocblas_int, rocblas_int *) [T = double]"
	.size	__PRETTY_FUNCTION__._ZN9rocsolver6v33100L18syevx_permute_swapIdEEviiiPiPT_iS2_, 135

	.type	__hip_cuid_e8e6f361c4fc4d60,@object ; @__hip_cuid_e8e6f361c4fc4d60
	.section	.bss,"aw",@nobits
	.globl	__hip_cuid_e8e6f361c4fc4d60
__hip_cuid_e8e6f361c4fc4d60:
	.byte	0                               ; 0x0
	.size	__hip_cuid_e8e6f361c4fc4d60, 1

	.ident	"AMD clang version 22.0.0git (https://github.com/RadeonOpenCompute/llvm-project roc-7.2.4 26084 f58b06dce1f9c15707c5f808fd002e18c2accf7e)"
	.section	".note.GNU-stack","",@progbits
	.addrsig
	.addrsig_sym __hip_cuid_e8e6f361c4fc4d60
	.amdgpu_metadata
---
amdhsa.kernels:
  - .args:
      - .address_space:  global
        .offset:         0
        .size:           8
        .value_kind:     global_buffer
      - .offset:         8
        .size:           4
        .value_kind:     by_value
      - .offset:         12
        .size:           4
        .value_kind:     by_value
      - .offset:         16
        .size:           4
        .value_kind:     by_value
      - .offset:         24
        .size:           4
        .value_kind:     hidden_block_count_x
      - .offset:         28
        .size:           4
        .value_kind:     hidden_block_count_y
      - .offset:         32
        .size:           4
        .value_kind:     hidden_block_count_z
      - .offset:         36
        .size:           2
        .value_kind:     hidden_group_size_x
      - .offset:         38
        .size:           2
        .value_kind:     hidden_group_size_y
      - .offset:         40
        .size:           2
        .value_kind:     hidden_group_size_z
      - .offset:         42
        .size:           2
        .value_kind:     hidden_remainder_x
      - .offset:         44
        .size:           2
        .value_kind:     hidden_remainder_y
      - .offset:         46
        .size:           2
        .value_kind:     hidden_remainder_z
      - .offset:         64
        .size:           8
        .value_kind:     hidden_global_offset_x
      - .offset:         72
        .size:           8
        .value_kind:     hidden_global_offset_y
      - .offset:         80
        .size:           8
        .value_kind:     hidden_global_offset_z
      - .offset:         88
        .size:           2
        .value_kind:     hidden_grid_dims
    .group_segment_fixed_size: 0
    .kernarg_segment_align: 8
    .kernarg_segment_size: 280
    .language:       OpenCL C
    .language_version:
      - 2
      - 0
    .max_flat_workgroup_size: 1024
    .name:           _ZN9rocsolver6v33100L10reset_infoIiiiEEvPT_T0_T1_S4_
    .private_segment_fixed_size: 0
    .sgpr_count:     10
    .sgpr_spill_count: 0
    .symbol:         _ZN9rocsolver6v33100L10reset_infoIiiiEEvPT_T0_T1_S4_.kd
    .uniform_work_group_size: 1
    .uses_dynamic_stack: false
    .vgpr_count:     5
    .vgpr_spill_count: 0
    .wavefront_size: 32
    .workgroup_processor_mode: 1
  - .args:
      - .address_space:  global
        .offset:         0
        .size:           8
        .value_kind:     global_buffer
      - .offset:         8
        .size:           4
        .value_kind:     by_value
      - .offset:         12
        .size:           4
        .value_kind:     by_value
      - .offset:         16
        .size:           4
        .value_kind:     by_value
      - .offset:         24
        .size:           4
        .value_kind:     hidden_block_count_x
      - .offset:         28
        .size:           4
        .value_kind:     hidden_block_count_y
      - .offset:         32
        .size:           4
        .value_kind:     hidden_block_count_z
      - .offset:         36
        .size:           2
        .value_kind:     hidden_group_size_x
      - .offset:         38
        .size:           2
        .value_kind:     hidden_group_size_y
      - .offset:         40
        .size:           2
        .value_kind:     hidden_group_size_z
      - .offset:         42
        .size:           2
        .value_kind:     hidden_remainder_x
      - .offset:         44
        .size:           2
        .value_kind:     hidden_remainder_y
      - .offset:         46
        .size:           2
        .value_kind:     hidden_remainder_z
      - .offset:         64
        .size:           8
        .value_kind:     hidden_global_offset_x
      - .offset:         72
        .size:           8
        .value_kind:     hidden_global_offset_y
      - .offset:         80
        .size:           8
        .value_kind:     hidden_global_offset_z
      - .offset:         88
        .size:           2
        .value_kind:     hidden_grid_dims
    .group_segment_fixed_size: 0
    .kernarg_segment_align: 8
    .kernarg_segment_size: 280
    .language:       OpenCL C
    .language_version:
      - 2
      - 0
    .max_flat_workgroup_size: 1024
    .name:           _ZN9rocsolver6v33100L10reset_infoIfiiEEvPT_T0_T1_S4_
    .private_segment_fixed_size: 0
    .sgpr_count:     10
    .sgpr_spill_count: 0
    .symbol:         _ZN9rocsolver6v33100L10reset_infoIfiiEEvPT_T0_T1_S4_.kd
    .uniform_work_group_size: 1
    .uses_dynamic_stack: false
    .vgpr_count:     4
    .vgpr_spill_count: 0
    .wavefront_size: 32
    .workgroup_processor_mode: 1
  - .args:
      - .offset:         0
        .size:           4
        .value_kind:     by_value
      - .offset:         4
        .size:           4
        .value_kind:     by_value
      - .address_space:  global
        .offset:         8
        .size:           8
        .value_kind:     global_buffer
      - .offset:         16
        .size:           4
        .value_kind:     by_value
      - .offset:         20
        .size:           4
        .value_kind:     by_value
      - .offset:         24
        .size:           8
        .value_kind:     by_value
      - .address_space:  global
        .offset:         32
        .size:           8
        .value_kind:     global_buffer
      - .offset:         40
        .size:           4
        .value_kind:     by_value
      - .offset:         44
        .size:           4
        .value_kind:     by_value
      - .offset:         48
        .size:           8
        .value_kind:     by_value
      - .offset:         56
        .size:           1
        .value_kind:     by_value
      - .offset:         60
        .size:           4
        .value_kind:     by_value
      - .offset:         64
        .size:           4
        .value_kind:     by_value
      - .offset:         72
        .size:           4
        .value_kind:     hidden_block_count_x
      - .offset:         76
        .size:           4
        .value_kind:     hidden_block_count_y
      - .offset:         80
        .size:           4
        .value_kind:     hidden_block_count_z
      - .offset:         84
        .size:           2
        .value_kind:     hidden_group_size_x
      - .offset:         86
        .size:           2
        .value_kind:     hidden_group_size_y
      - .offset:         88
        .size:           2
        .value_kind:     hidden_group_size_z
      - .offset:         90
        .size:           2
        .value_kind:     hidden_remainder_x
      - .offset:         92
        .size:           2
        .value_kind:     hidden_remainder_y
      - .offset:         94
        .size:           2
        .value_kind:     hidden_remainder_z
      - .offset:         112
        .size:           8
        .value_kind:     hidden_global_offset_x
      - .offset:         120
        .size:           8
        .value_kind:     hidden_global_offset_y
      - .offset:         128
        .size:           8
        .value_kind:     hidden_global_offset_z
      - .offset:         136
        .size:           2
        .value_kind:     hidden_grid_dims
    .group_segment_fixed_size: 0
    .kernarg_segment_align: 8
    .kernarg_segment_size: 328
    .language:       OpenCL C
    .language_version:
      - 2
      - 0
    .max_flat_workgroup_size: 1024
    .name:           _ZN9rocsolver6v33100L8copy_matIfPfS2_NS0_7no_maskEEEviiT0_iilT1_iilT2_13rocblas_fill_17rocblas_diagonal_
    .private_segment_fixed_size: 0
    .sgpr_count:     22
    .sgpr_spill_count: 0
    .symbol:         _ZN9rocsolver6v33100L8copy_matIfPfS2_NS0_7no_maskEEEviiT0_iilT1_iilT2_13rocblas_fill_17rocblas_diagonal_.kd
    .uniform_work_group_size: 1
    .uses_dynamic_stack: false
    .vgpr_count:     7
    .vgpr_spill_count: 0
    .wavefront_size: 32
    .workgroup_processor_mode: 1
  - .args:
      - .offset:         0
        .size:           4
        .value_kind:     by_value
      - .offset:         4
        .size:           4
        .value_kind:     by_value
      - .offset:         8
        .size:           4
        .value_kind:     by_value
      - .address_space:  global
        .offset:         16
        .size:           8
        .value_kind:     global_buffer
      - .offset:         24
        .size:           4
        .value_kind:     by_value
      - .offset:         32
        .size:           8
        .value_kind:     by_value
      - .address_space:  global
        .offset:         40
        .size:           8
        .value_kind:     global_buffer
      - .address_space:  global
        .offset:         48
        .size:           8
        .value_kind:     global_buffer
      - .address_space:  global
        .offset:         56
        .size:           8
        .value_kind:     global_buffer
      - .offset:         64
        .size:           8
        .value_kind:     by_value
      - .address_space:  global
        .offset:         72
        .size:           8
        .value_kind:     global_buffer
      - .offset:         80
        .size:           8
        .value_kind:     by_value
      - .address_space:  global
        .offset:         88
        .size:           8
        .value_kind:     global_buffer
      - .offset:         96
        .size:           8
        .value_kind:     by_value
      - .offset:         104
        .size:           4
        .value_kind:     by_value
      - .offset:         112
        .size:           4
        .value_kind:     hidden_block_count_x
      - .offset:         116
        .size:           4
        .value_kind:     hidden_block_count_y
      - .offset:         120
        .size:           4
        .value_kind:     hidden_block_count_z
      - .offset:         124
        .size:           2
        .value_kind:     hidden_group_size_x
      - .offset:         126
        .size:           2
        .value_kind:     hidden_group_size_y
      - .offset:         128
        .size:           2
        .value_kind:     hidden_group_size_z
      - .offset:         130
        .size:           2
        .value_kind:     hidden_remainder_x
      - .offset:         132
        .size:           2
        .value_kind:     hidden_remainder_y
      - .offset:         134
        .size:           2
        .value_kind:     hidden_remainder_z
      - .offset:         152
        .size:           8
        .value_kind:     hidden_global_offset_x
      - .offset:         160
        .size:           8
        .value_kind:     hidden_global_offset_y
      - .offset:         168
        .size:           8
        .value_kind:     hidden_global_offset_z
      - .offset:         176
        .size:           2
        .value_kind:     hidden_grid_dims
    .group_segment_fixed_size: 0
    .kernarg_segment_align: 8
    .kernarg_segment_size: 368
    .language:       OpenCL C
    .language_version:
      - 2
      - 0
    .max_flat_workgroup_size: 1024
    .name:           _ZN9rocsolver6v33100L18stebz_case1_kernelIfPfEEv15rocblas_erange_T_S4_T0_ilPiS6_PS4_lS6_lS6_li
    .private_segment_fixed_size: 0
    .sgpr_count:     26
    .sgpr_spill_count: 0
    .symbol:         _ZN9rocsolver6v33100L18stebz_case1_kernelIfPfEEv15rocblas_erange_T_S4_T0_ilPiS6_PS4_lS6_lS6_li.kd
    .uniform_work_group_size: 1
    .uses_dynamic_stack: false
    .vgpr_count:     11
    .vgpr_spill_count: 0
    .wavefront_size: 32
    .workgroup_processor_mode: 1
  - .args:
      - .offset:         0
        .size:           4
        .value_kind:     by_value
      - .offset:         4
        .size:           4
        .value_kind:     by_value
      - .offset:         8
        .size:           4
        .value_kind:     by_value
      - .offset:         12
        .size:           4
        .value_kind:     by_value
      - .offset:         16
        .size:           4
        .value_kind:     by_value
      - .offset:         20
        .size:           4
        .value_kind:     by_value
      - .address_space:  global
        .offset:         24
        .size:           8
        .value_kind:     global_buffer
      - .offset:         32
        .size:           4
        .value_kind:     by_value
      - .offset:         36
        .size:           4
        .value_kind:     by_value
      - .address_space:  global
        .offset:         40
        .size:           8
        .value_kind:     global_buffer
      - .offset:         48
        .size:           4
        .value_kind:     by_value
      - .offset:         52
        .size:           4
        .value_kind:     by_value
      - .address_space:  global
        .offset:         56
        .size:           8
        .value_kind:     global_buffer
      - .address_space:  global
        .offset:         64
        .size:           8
        .value_kind:     global_buffer
      - .offset:         72
        .size:           8
        .value_kind:     by_value
      - .address_space:  global
        .offset:         80
        .size:           8
        .value_kind:     global_buffer
      - .offset:         88
        .size:           8
        .value_kind:     by_value
      - .address_space:  global
        .offset:         96
        .size:           8
        .value_kind:     global_buffer
      - .address_space:  global
        .offset:         104
        .size:           8
        .value_kind:     global_buffer
      - .address_space:  global
        .offset:         112
        .size:           8
        .value_kind:     global_buffer
      - .address_space:  global
        .offset:         120
        .size:           8
        .value_kind:     global_buffer
      - .address_space:  global
        .offset:         128
        .size:           8
        .value_kind:     global_buffer
      - .address_space:  global
        .offset:         136
        .size:           8
        .value_kind:     global_buffer
      - .offset:         144
        .size:           4
        .value_kind:     by_value
      - .offset:         148
        .size:           4
        .value_kind:     by_value
    .group_segment_fixed_size: 2048
    .kernarg_segment_align: 8
    .kernarg_segment_size: 152
    .language:       OpenCL C
    .language_version:
      - 2
      - 0
    .max_flat_workgroup_size: 256
    .name:           _ZN9rocsolver6v33100L22stebz_splitting_kernelIfPfEEv15rocblas_erange_iT_S4_iiT0_iiS5_iiPiPS4_lS6_lS6_S7_S7_S7_S7_S6_S4_S4_
    .private_segment_fixed_size: 0
    .sgpr_count:     50
    .sgpr_spill_count: 0
    .symbol:         _ZN9rocsolver6v33100L22stebz_splitting_kernelIfPfEEv15rocblas_erange_iT_S4_iiT0_iiS5_iiPiPS4_lS6_lS6_S7_S7_S7_S7_S6_S4_S4_.kd
    .uniform_work_group_size: 1
    .uses_dynamic_stack: false
    .vgpr_count:     21
    .vgpr_spill_count: 0
    .wavefront_size: 32
    .workgroup_processor_mode: 1
  - .args:
      - .offset:         0
        .size:           4
        .value_kind:     by_value
      - .offset:         4
        .size:           4
        .value_kind:     by_value
      - .offset:         8
        .size:           4
        .value_kind:     by_value
      - .address_space:  global
        .offset:         16
        .size:           8
        .value_kind:     global_buffer
      - .offset:         24
        .size:           4
        .value_kind:     by_value
      - .offset:         28
        .size:           4
        .value_kind:     by_value
      - .address_space:  global
        .offset:         32
        .size:           8
        .value_kind:     global_buffer
      - .offset:         40
        .size:           4
        .value_kind:     by_value
      - .offset:         44
        .size:           4
        .value_kind:     by_value
      - .address_space:  global
        .offset:         48
        .size:           8
        .value_kind:     global_buffer
      - .address_space:  global
        .offset:         56
        .size:           8
        .value_kind:     global_buffer
      - .offset:         64
        .size:           8
        .value_kind:     by_value
      - .address_space:  global
        .offset:         72
        .size:           8
        .value_kind:     global_buffer
      - .offset:         80
        .size:           8
        .value_kind:     by_value
      - .address_space:  global
        .offset:         88
        .size:           8
        .value_kind:     global_buffer
      - .offset:         96
        .size:           8
        .value_kind:     by_value
      - .address_space:  global
        .offset:         104
        .size:           8
        .value_kind:     global_buffer
      - .address_space:  global
        .offset:         112
        .size:           8
        .value_kind:     global_buffer
      - .address_space:  global
        .offset:         120
        .size:           8
        .value_kind:     global_buffer
      - .address_space:  global
        .offset:         128
        .size:           8
        .value_kind:     global_buffer
      - .address_space:  global
        .offset:         136
        .size:           8
        .value_kind:     global_buffer
      - .address_space:  global
        .offset:         144
        .size:           8
        .value_kind:     global_buffer
      - .address_space:  global
        .offset:         152
        .size:           8
        .value_kind:     global_buffer
      - .offset:         160
        .size:           4
        .value_kind:     by_value
      - .offset:         164
        .size:           4
        .value_kind:     by_value
    .group_segment_fixed_size: 4616
    .kernarg_segment_align: 8
    .kernarg_segment_size: 168
    .language:       OpenCL C
    .language_version:
      - 2
      - 0
    .max_flat_workgroup_size: 128
    .name:           _ZN9rocsolver6v33100L22stebz_bisection_kernelIfPfEEv15rocblas_erange_iT_T0_iiS5_iiPiPS4_lS6_lS6_lS6_S6_S7_S7_S7_S7_S6_S4_S4_
    .private_segment_fixed_size: 0
    .sgpr_count:     72
    .sgpr_spill_count: 0
    .symbol:         _ZN9rocsolver6v33100L22stebz_bisection_kernelIfPfEEv15rocblas_erange_iT_T0_iiS5_iiPiPS4_lS6_lS6_lS6_S6_S7_S7_S7_S7_S6_S4_S4_.kd
    .uniform_work_group_size: 1
    .uses_dynamic_stack: false
    .vgpr_count:     24
    .vgpr_spill_count: 0
    .wavefront_size: 32
    .workgroup_processor_mode: 1
  - .args:
      - .offset:         0
        .size:           4
        .value_kind:     by_value
      - .offset:         4
        .size:           4
        .value_kind:     by_value
      - .offset:         8
        .size:           4
        .value_kind:     by_value
      - .offset:         12
        .size:           4
        .value_kind:     by_value
      - .offset:         16
        .size:           4
        .value_kind:     by_value
      - .address_space:  global
        .offset:         24
        .size:           8
        .value_kind:     global_buffer
      - .offset:         32
        .size:           4
        .value_kind:     by_value
      - .offset:         36
        .size:           4
        .value_kind:     by_value
      - .address_space:  global
        .offset:         40
        .size:           8
        .value_kind:     global_buffer
      - .address_space:  global
        .offset:         48
        .size:           8
        .value_kind:     global_buffer
      - .address_space:  global
        .offset:         56
        .size:           8
        .value_kind:     global_buffer
      - .offset:         64
        .size:           8
        .value_kind:     by_value
      - .address_space:  global
        .offset:         72
        .size:           8
        .value_kind:     global_buffer
      - .offset:         80
        .size:           8
        .value_kind:     by_value
      - .address_space:  global
        .offset:         88
        .size:           8
        .value_kind:     global_buffer
      - .offset:         96
        .size:           8
        .value_kind:     by_value
      - .offset:         104
        .size:           4
        .value_kind:     by_value
      - .address_space:  global
        .offset:         112
        .size:           8
        .value_kind:     global_buffer
      - .address_space:  global
        .offset:         120
        .size:           8
        .value_kind:     global_buffer
      - .address_space:  global
        .offset:         128
        .size:           8
        .value_kind:     global_buffer
      - .address_space:  global
        .offset:         136
        .size:           8
        .value_kind:     global_buffer
      - .address_space:  global
        .offset:         144
        .size:           8
        .value_kind:     global_buffer
      - .address_space:  global
        .offset:         152
        .size:           8
        .value_kind:     global_buffer
      - .offset:         160
        .size:           4
        .value_kind:     by_value
      - .offset:         168
        .size:           4
        .value_kind:     hidden_block_count_x
      - .offset:         172
        .size:           4
        .value_kind:     hidden_block_count_y
      - .offset:         176
        .size:           4
        .value_kind:     hidden_block_count_z
      - .offset:         180
        .size:           2
        .value_kind:     hidden_group_size_x
      - .offset:         182
        .size:           2
        .value_kind:     hidden_group_size_y
      - .offset:         184
        .size:           2
        .value_kind:     hidden_group_size_z
      - .offset:         186
        .size:           2
        .value_kind:     hidden_remainder_x
      - .offset:         188
        .size:           2
        .value_kind:     hidden_remainder_y
      - .offset:         190
        .size:           2
        .value_kind:     hidden_remainder_z
      - .offset:         208
        .size:           8
        .value_kind:     hidden_global_offset_x
      - .offset:         216
        .size:           8
        .value_kind:     hidden_global_offset_y
      - .offset:         224
        .size:           8
        .value_kind:     hidden_global_offset_z
      - .offset:         232
        .size:           2
        .value_kind:     hidden_grid_dims
    .group_segment_fixed_size: 0
    .kernarg_segment_align: 8
    .kernarg_segment_size: 424
    .language:       OpenCL C
    .language_version:
      - 2
      - 0
    .max_flat_workgroup_size: 1024
    .name:           _ZN9rocsolver6v33100L22stebz_synthesis_kernelIfPfEEv15rocblas_erange_15rocblas_eorder_iiiT0_iiPiS6_PT_lS6_lS6_liS6_S8_S8_S8_S8_S6_S7_
    .private_segment_fixed_size: 0
    .sgpr_count:     42
    .sgpr_spill_count: 0
    .symbol:         _ZN9rocsolver6v33100L22stebz_synthesis_kernelIfPfEEv15rocblas_erange_15rocblas_eorder_iiiT0_iiPiS6_PT_lS6_lS6_liS6_S8_S8_S8_S8_S6_S7_.kd
    .uniform_work_group_size: 1
    .uses_dynamic_stack: false
    .vgpr_count:     42
    .vgpr_spill_count: 0
    .wavefront_size: 32
    .workgroup_processor_mode: 1
  - .args:
      - .offset:         0
        .size:           4
        .value_kind:     by_value
      - .address_space:  global
        .offset:         8
        .size:           8
        .value_kind:     global_buffer
      - .address_space:  global
        .offset:         16
        .size:           8
        .value_kind:     global_buffer
      - .offset:         24
        .size:           8
        .value_kind:     by_value
      - .address_space:  global
        .offset:         32
        .size:           8
        .value_kind:     global_buffer
      - .offset:         40
        .size:           4
        .value_kind:     hidden_block_count_x
      - .offset:         44
        .size:           4
        .value_kind:     hidden_block_count_y
      - .offset:         48
        .size:           4
        .value_kind:     hidden_block_count_z
      - .offset:         52
        .size:           2
        .value_kind:     hidden_group_size_x
      - .offset:         54
        .size:           2
        .value_kind:     hidden_group_size_y
      - .offset:         56
        .size:           2
        .value_kind:     hidden_group_size_z
      - .offset:         58
        .size:           2
        .value_kind:     hidden_remainder_x
      - .offset:         60
        .size:           2
        .value_kind:     hidden_remainder_y
      - .offset:         62
        .size:           2
        .value_kind:     hidden_remainder_z
      - .offset:         80
        .size:           8
        .value_kind:     hidden_global_offset_x
      - .offset:         88
        .size:           8
        .value_kind:     hidden_global_offset_y
      - .offset:         96
        .size:           8
        .value_kind:     hidden_global_offset_z
      - .offset:         104
        .size:           2
        .value_kind:     hidden_grid_dims
    .group_segment_fixed_size: 0
    .kernarg_segment_align: 8
    .kernarg_segment_size: 296
    .language:       OpenCL C
    .language_version:
      - 2
      - 0
    .max_flat_workgroup_size: 1024
    .name:           _ZN9rocsolver6v33100L15bdsvdx_abs_eigsIfEEviPiPT_lS4_
    .private_segment_fixed_size: 0
    .sgpr_count:     18
    .sgpr_spill_count: 0
    .symbol:         _ZN9rocsolver6v33100L15bdsvdx_abs_eigsIfEEviPiPT_lS4_.kd
    .uniform_work_group_size: 1
    .uses_dynamic_stack: false
    .vgpr_count:     4
    .vgpr_spill_count: 0
    .wavefront_size: 32
    .workgroup_processor_mode: 1
  - .args:
      - .offset:         0
        .size:           4
        .value_kind:     by_value
      - .address_space:  global
        .offset:         8
        .size:           8
        .value_kind:     global_buffer
      - .offset:         16
        .size:           8
        .value_kind:     by_value
      - .address_space:  global
        .offset:         24
        .size:           8
        .value_kind:     global_buffer
      - .offset:         32
        .size:           8
        .value_kind:     by_value
      - .address_space:  global
        .offset:         40
        .size:           8
        .value_kind:     global_buffer
      - .address_space:  global
        .offset:         48
        .size:           8
        .value_kind:     global_buffer
      - .offset:         56
        .size:           8
        .value_kind:     by_value
      - .address_space:  global
        .offset:         64
        .size:           8
        .value_kind:     global_buffer
      - .offset:         72
        .size:           8
        .value_kind:     by_value
      - .address_space:  global
        .offset:         80
        .size:           8
        .value_kind:     global_buffer
      - .offset:         88
        .size:           8
        .value_kind:     by_value
      - .address_space:  global
        .offset:         96
        .size:           8
        .value_kind:     global_buffer
      - .offset:         104
        .size:           4
        .value_kind:     by_value
      - .offset:         108
        .size:           4
        .value_kind:     by_value
      - .offset:         112
        .size:           8
        .value_kind:     by_value
      - .address_space:  global
        .offset:         120
        .size:           8
        .value_kind:     global_buffer
      - .offset:         128
        .size:           8
        .value_kind:     by_value
      - .address_space:  global
        .offset:         136
        .size:           8
        .value_kind:     global_buffer
      - .address_space:  global
        .offset:         144
        .size:           8
        .value_kind:     global_buffer
      - .address_space:  global
        .offset:         152
        .size:           8
        .value_kind:     global_buffer
      - .offset:         160
        .size:           4
        .value_kind:     by_value
      - .offset:         164
        .size:           4
        .value_kind:     by_value
    .group_segment_fixed_size: 8
    .kernarg_segment_align: 8
    .kernarg_segment_size: 168
    .language:       OpenCL C
    .language_version:
      - 2
      - 0
    .max_flat_workgroup_size: 256
    .name:           _ZN9rocsolver6v33100L12stein_kernelIffPfEEviPT0_lS4_lPiS4_lS5_lS5_lT1_iilS5_lS5_S4_S5_S3_S3_
    .private_segment_fixed_size: 0
    .sgpr_count:     107
    .sgpr_spill_count: 0
    .symbol:         _ZN9rocsolver6v33100L12stein_kernelIffPfEEviPT0_lS4_lPiS4_lS5_lS5_lT1_iilS5_lS5_S4_S5_S3_S3_.kd
    .uniform_work_group_size: 1
    .uses_dynamic_stack: false
    .vgpr_count:     40
    .vgpr_spill_count: 0
    .wavefront_size: 32
    .workgroup_processor_mode: 1
  - .args:
      - .offset:         0
        .size:           4
        .value_kind:     by_value
      - .address_space:  global
        .offset:         8
        .size:           8
        .value_kind:     global_buffer
      - .address_space:  global
        .offset:         16
        .size:           8
        .value_kind:     global_buffer
      - .offset:         24
        .size:           8
        .value_kind:     by_value
      - .address_space:  global
        .offset:         32
        .size:           8
        .value_kind:     global_buffer
      - .offset:         40
        .size:           4
        .value_kind:     by_value
      - .offset:         44
        .size:           4
        .value_kind:     by_value
      - .offset:         48
        .size:           8
        .value_kind:     by_value
      - .address_space:  global
        .offset:         56
        .size:           8
        .value_kind:     global_buffer
      - .offset:         64
        .size:           8
        .value_kind:     by_value
      - .address_space:  global
        .offset:         72
        .size:           8
        .value_kind:     global_buffer
      - .address_space:  global
        .offset:         80
        .size:           8
        .value_kind:     global_buffer
      - .offset:         88
        .size:           4
        .value_kind:     hidden_block_count_x
      - .offset:         92
        .size:           4
        .value_kind:     hidden_block_count_y
      - .offset:         96
        .size:           4
        .value_kind:     hidden_block_count_z
      - .offset:         100
        .size:           2
        .value_kind:     hidden_group_size_x
      - .offset:         102
        .size:           2
        .value_kind:     hidden_group_size_y
      - .offset:         104
        .size:           2
        .value_kind:     hidden_group_size_z
      - .offset:         106
        .size:           2
        .value_kind:     hidden_remainder_x
      - .offset:         108
        .size:           2
        .value_kind:     hidden_remainder_y
      - .offset:         110
        .size:           2
        .value_kind:     hidden_remainder_z
      - .offset:         128
        .size:           8
        .value_kind:     hidden_global_offset_x
      - .offset:         136
        .size:           8
        .value_kind:     hidden_global_offset_y
      - .offset:         144
        .size:           8
        .value_kind:     hidden_global_offset_z
      - .offset:         152
        .size:           2
        .value_kind:     hidden_grid_dims
      - .offset:         168
        .size:           8
        .value_kind:     hidden_hostcall_buffer
    .group_segment_fixed_size: 0
    .kernarg_segment_align: 8
    .kernarg_segment_size: 344
    .language:       OpenCL C
    .language_version:
      - 2
      - 0
    .max_flat_workgroup_size: 256
    .name:           _ZN9rocsolver6v33100L15syevx_sort_eigsIffPfEEviPiPT0_lT1_iilS3_lS3_S3_
    .private_segment_fixed_size: 64
    .sgpr_count:     54
    .sgpr_spill_count: 0
    .symbol:         _ZN9rocsolver6v33100L15syevx_sort_eigsIffPfEEviPiPT0_lT1_iilS3_lS3_S3_.kd
    .uniform_work_group_size: 1
    .uses_dynamic_stack: false
    .vgpr_count:     52
    .vgpr_spill_count: 0
    .wavefront_size: 32
    .workgroup_processor_mode: 1
  - .args:
      - .offset:         0
        .size:           4
        .value_kind:     by_value
      - .offset:         4
        .size:           4
        .value_kind:     by_value
      - .address_space:  global
        .offset:         8
        .size:           8
        .value_kind:     global_buffer
      - .address_space:  global
        .offset:         16
        .size:           8
        .value_kind:     global_buffer
      - .offset:         24
        .size:           8
        .value_kind:     by_value
      - .address_space:  global
        .offset:         32
        .size:           8
        .value_kind:     global_buffer
      - .offset:         40
        .size:           4
        .value_kind:     by_value
      - .offset:         44
        .size:           4
        .value_kind:     by_value
      - .offset:         48
        .size:           8
        .value_kind:     by_value
      - .address_space:  global
        .offset:         56
        .size:           8
        .value_kind:     global_buffer
      - .offset:         64
        .size:           4
        .value_kind:     hidden_block_count_x
      - .offset:         68
        .size:           4
        .value_kind:     hidden_block_count_y
      - .offset:         72
        .size:           4
        .value_kind:     hidden_block_count_z
      - .offset:         76
        .size:           2
        .value_kind:     hidden_group_size_x
      - .offset:         78
        .size:           2
        .value_kind:     hidden_group_size_y
      - .offset:         80
        .size:           2
        .value_kind:     hidden_group_size_z
      - .offset:         82
        .size:           2
        .value_kind:     hidden_remainder_x
      - .offset:         84
        .size:           2
        .value_kind:     hidden_remainder_y
      - .offset:         86
        .size:           2
        .value_kind:     hidden_remainder_z
      - .offset:         104
        .size:           8
        .value_kind:     hidden_global_offset_x
      - .offset:         112
        .size:           8
        .value_kind:     hidden_global_offset_y
      - .offset:         120
        .size:           8
        .value_kind:     hidden_global_offset_z
      - .offset:         128
        .size:           2
        .value_kind:     hidden_grid_dims
    .group_segment_fixed_size: 0
    .kernarg_segment_align: 8
    .kernarg_segment_size: 320
    .language:       OpenCL C
    .language_version:
      - 2
      - 0
    .max_flat_workgroup_size: 1024
    .name:           _ZN9rocsolver6v33100L19bdsvdx_reorder_vectIfPfEEv13rocblas_fill_iPiPT_lT0_iilS6_
    .private_segment_fixed_size: 0
    .sgpr_count:     24
    .sgpr_spill_count: 0
    .symbol:         _ZN9rocsolver6v33100L19bdsvdx_reorder_vectIfPfEEv13rocblas_fill_iPiPT_lT0_iilS6_.kd
    .uniform_work_group_size: 1
    .uses_dynamic_stack: false
    .vgpr_count:     9
    .vgpr_spill_count: 0
    .wavefront_size: 32
    .workgroup_processor_mode: 1
  - .args:
      - .address_space:  global
        .offset:         0
        .size:           8
        .value_kind:     global_buffer
      - .offset:         8
        .size:           4
        .value_kind:     by_value
      - .offset:         12
        .size:           4
        .value_kind:     by_value
      - .offset:         16
        .size:           4
        .value_kind:     by_value
      - .offset:         24
        .size:           4
        .value_kind:     hidden_block_count_x
      - .offset:         28
        .size:           4
        .value_kind:     hidden_block_count_y
      - .offset:         32
        .size:           4
        .value_kind:     hidden_block_count_z
      - .offset:         36
        .size:           2
        .value_kind:     hidden_group_size_x
      - .offset:         38
        .size:           2
        .value_kind:     hidden_group_size_y
      - .offset:         40
        .size:           2
        .value_kind:     hidden_group_size_z
      - .offset:         42
        .size:           2
        .value_kind:     hidden_remainder_x
      - .offset:         44
        .size:           2
        .value_kind:     hidden_remainder_y
      - .offset:         46
        .size:           2
        .value_kind:     hidden_remainder_z
      - .offset:         64
        .size:           8
        .value_kind:     hidden_global_offset_x
      - .offset:         72
        .size:           8
        .value_kind:     hidden_global_offset_y
      - .offset:         80
        .size:           8
        .value_kind:     hidden_global_offset_z
      - .offset:         88
        .size:           2
        .value_kind:     hidden_grid_dims
    .group_segment_fixed_size: 0
    .kernarg_segment_align: 8
    .kernarg_segment_size: 280
    .language:       OpenCL C
    .language_version:
      - 2
      - 0
    .max_flat_workgroup_size: 1024
    .name:           _ZN9rocsolver6v33100L10reset_infoIdiiEEvPT_T0_T1_S4_
    .private_segment_fixed_size: 0
    .sgpr_count:     10
    .sgpr_spill_count: 0
    .symbol:         _ZN9rocsolver6v33100L10reset_infoIdiiEEvPT_T0_T1_S4_.kd
    .uniform_work_group_size: 1
    .uses_dynamic_stack: false
    .vgpr_count:     5
    .vgpr_spill_count: 0
    .wavefront_size: 32
    .workgroup_processor_mode: 1
  - .args:
      - .offset:         0
        .size:           4
        .value_kind:     by_value
      - .offset:         4
        .size:           4
        .value_kind:     by_value
      - .address_space:  global
        .offset:         8
        .size:           8
        .value_kind:     global_buffer
      - .offset:         16
        .size:           4
        .value_kind:     by_value
      - .offset:         20
        .size:           4
        .value_kind:     by_value
      - .offset:         24
        .size:           8
        .value_kind:     by_value
      - .address_space:  global
        .offset:         32
        .size:           8
        .value_kind:     global_buffer
      - .offset:         40
        .size:           4
        .value_kind:     by_value
      - .offset:         44
        .size:           4
        .value_kind:     by_value
      - .offset:         48
        .size:           8
        .value_kind:     by_value
      - .offset:         56
        .size:           1
        .value_kind:     by_value
      - .offset:         60
        .size:           4
        .value_kind:     by_value
      - .offset:         64
        .size:           4
        .value_kind:     by_value
      - .offset:         72
        .size:           4
        .value_kind:     hidden_block_count_x
      - .offset:         76
        .size:           4
        .value_kind:     hidden_block_count_y
      - .offset:         80
        .size:           4
        .value_kind:     hidden_block_count_z
      - .offset:         84
        .size:           2
        .value_kind:     hidden_group_size_x
      - .offset:         86
        .size:           2
        .value_kind:     hidden_group_size_y
      - .offset:         88
        .size:           2
        .value_kind:     hidden_group_size_z
      - .offset:         90
        .size:           2
        .value_kind:     hidden_remainder_x
      - .offset:         92
        .size:           2
        .value_kind:     hidden_remainder_y
      - .offset:         94
        .size:           2
        .value_kind:     hidden_remainder_z
      - .offset:         112
        .size:           8
        .value_kind:     hidden_global_offset_x
      - .offset:         120
        .size:           8
        .value_kind:     hidden_global_offset_y
      - .offset:         128
        .size:           8
        .value_kind:     hidden_global_offset_z
      - .offset:         136
        .size:           2
        .value_kind:     hidden_grid_dims
    .group_segment_fixed_size: 0
    .kernarg_segment_align: 8
    .kernarg_segment_size: 328
    .language:       OpenCL C
    .language_version:
      - 2
      - 0
    .max_flat_workgroup_size: 1024
    .name:           _ZN9rocsolver6v33100L8copy_matIdPdS2_NS0_7no_maskEEEviiT0_iilT1_iilT2_13rocblas_fill_17rocblas_diagonal_
    .private_segment_fixed_size: 0
    .sgpr_count:     22
    .sgpr_spill_count: 0
    .symbol:         _ZN9rocsolver6v33100L8copy_matIdPdS2_NS0_7no_maskEEEviiT0_iilT1_iilT2_13rocblas_fill_17rocblas_diagonal_.kd
    .uniform_work_group_size: 1
    .uses_dynamic_stack: false
    .vgpr_count:     7
    .vgpr_spill_count: 0
    .wavefront_size: 32
    .workgroup_processor_mode: 1
  - .args:
      - .offset:         0
        .size:           4
        .value_kind:     by_value
      - .offset:         8
        .size:           8
        .value_kind:     by_value
      - .offset:         16
        .size:           8
        .value_kind:     by_value
      - .address_space:  global
        .offset:         24
        .size:           8
        .value_kind:     global_buffer
      - .offset:         32
        .size:           4
        .value_kind:     by_value
      - .offset:         40
        .size:           8
        .value_kind:     by_value
      - .address_space:  global
        .offset:         48
        .size:           8
        .value_kind:     global_buffer
      - .address_space:  global
        .offset:         56
        .size:           8
        .value_kind:     global_buffer
      - .address_space:  global
        .offset:         64
        .size:           8
        .value_kind:     global_buffer
      - .offset:         72
        .size:           8
        .value_kind:     by_value
      - .address_space:  global
        .offset:         80
        .size:           8
        .value_kind:     global_buffer
      - .offset:         88
        .size:           8
        .value_kind:     by_value
      - .address_space:  global
        .offset:         96
        .size:           8
        .value_kind:     global_buffer
      - .offset:         104
        .size:           8
        .value_kind:     by_value
      - .offset:         112
        .size:           4
        .value_kind:     by_value
      - .offset:         120
        .size:           4
        .value_kind:     hidden_block_count_x
      - .offset:         124
        .size:           4
        .value_kind:     hidden_block_count_y
      - .offset:         128
        .size:           4
        .value_kind:     hidden_block_count_z
      - .offset:         132
        .size:           2
        .value_kind:     hidden_group_size_x
      - .offset:         134
        .size:           2
        .value_kind:     hidden_group_size_y
      - .offset:         136
        .size:           2
        .value_kind:     hidden_group_size_z
      - .offset:         138
        .size:           2
        .value_kind:     hidden_remainder_x
      - .offset:         140
        .size:           2
        .value_kind:     hidden_remainder_y
      - .offset:         142
        .size:           2
        .value_kind:     hidden_remainder_z
      - .offset:         160
        .size:           8
        .value_kind:     hidden_global_offset_x
      - .offset:         168
        .size:           8
        .value_kind:     hidden_global_offset_y
      - .offset:         176
        .size:           8
        .value_kind:     hidden_global_offset_z
      - .offset:         184
        .size:           2
        .value_kind:     hidden_grid_dims
    .group_segment_fixed_size: 0
    .kernarg_segment_align: 8
    .kernarg_segment_size: 376
    .language:       OpenCL C
    .language_version:
      - 2
      - 0
    .max_flat_workgroup_size: 1024
    .name:           _ZN9rocsolver6v33100L18stebz_case1_kernelIdPdEEv15rocblas_erange_T_S4_T0_ilPiS6_PS4_lS6_lS6_li
    .private_segment_fixed_size: 0
    .sgpr_count:     26
    .sgpr_spill_count: 0
    .symbol:         _ZN9rocsolver6v33100L18stebz_case1_kernelIdPdEEv15rocblas_erange_T_S4_T0_ilPiS6_PS4_lS6_lS6_li.kd
    .uniform_work_group_size: 1
    .uses_dynamic_stack: false
    .vgpr_count:     12
    .vgpr_spill_count: 0
    .wavefront_size: 32
    .workgroup_processor_mode: 1
  - .args:
      - .offset:         0
        .size:           4
        .value_kind:     by_value
      - .offset:         4
        .size:           4
        .value_kind:     by_value
      - .offset:         8
        .size:           8
        .value_kind:     by_value
      - .offset:         16
        .size:           8
        .value_kind:     by_value
      - .offset:         24
        .size:           4
        .value_kind:     by_value
      - .offset:         28
        .size:           4
        .value_kind:     by_value
      - .address_space:  global
        .offset:         32
        .size:           8
        .value_kind:     global_buffer
      - .offset:         40
        .size:           4
        .value_kind:     by_value
      - .offset:         44
        .size:           4
        .value_kind:     by_value
      - .address_space:  global
        .offset:         48
        .size:           8
        .value_kind:     global_buffer
      - .offset:         56
        .size:           4
        .value_kind:     by_value
      - .offset:         60
        .size:           4
        .value_kind:     by_value
      - .address_space:  global
        .offset:         64
        .size:           8
        .value_kind:     global_buffer
      - .address_space:  global
        .offset:         72
        .size:           8
        .value_kind:     global_buffer
      - .offset:         80
        .size:           8
        .value_kind:     by_value
      - .address_space:  global
        .offset:         88
        .size:           8
        .value_kind:     global_buffer
      - .offset:         96
        .size:           8
        .value_kind:     by_value
      - .address_space:  global
        .offset:         104
        .size:           8
        .value_kind:     global_buffer
      - .address_space:  global
        .offset:         112
        .size:           8
        .value_kind:     global_buffer
      - .address_space:  global
        .offset:         120
        .size:           8
        .value_kind:     global_buffer
      - .address_space:  global
        .offset:         128
        .size:           8
        .value_kind:     global_buffer
      - .address_space:  global
        .offset:         136
        .size:           8
        .value_kind:     global_buffer
      - .address_space:  global
        .offset:         144
        .size:           8
        .value_kind:     global_buffer
      - .offset:         152
        .size:           8
        .value_kind:     by_value
      - .offset:         160
        .size:           8
        .value_kind:     by_value
    .group_segment_fixed_size: 3072
    .kernarg_segment_align: 8
    .kernarg_segment_size: 168
    .language:       OpenCL C
    .language_version:
      - 2
      - 0
    .max_flat_workgroup_size: 256
    .name:           _ZN9rocsolver6v33100L22stebz_splitting_kernelIdPdEEv15rocblas_erange_iT_S4_iiT0_iiS5_iiPiPS4_lS6_lS6_S7_S7_S7_S7_S6_S4_S4_
    .private_segment_fixed_size: 0
    .sgpr_count:     56
    .sgpr_spill_count: 0
    .symbol:         _ZN9rocsolver6v33100L22stebz_splitting_kernelIdPdEEv15rocblas_erange_iT_S4_iiT0_iiS5_iiPiPS4_lS6_lS6_S7_S7_S7_S7_S6_S4_S4_.kd
    .uniform_work_group_size: 1
    .uses_dynamic_stack: false
    .vgpr_count:     26
    .vgpr_spill_count: 0
    .wavefront_size: 32
    .workgroup_processor_mode: 1
  - .args:
      - .offset:         0
        .size:           4
        .value_kind:     by_value
      - .offset:         4
        .size:           4
        .value_kind:     by_value
      - .offset:         8
        .size:           8
        .value_kind:     by_value
      - .address_space:  global
        .offset:         16
        .size:           8
        .value_kind:     global_buffer
      - .offset:         24
        .size:           4
        .value_kind:     by_value
      - .offset:         28
        .size:           4
        .value_kind:     by_value
      - .address_space:  global
        .offset:         32
        .size:           8
        .value_kind:     global_buffer
      - .offset:         40
        .size:           4
        .value_kind:     by_value
      - .offset:         44
        .size:           4
        .value_kind:     by_value
      - .address_space:  global
        .offset:         48
        .size:           8
        .value_kind:     global_buffer
      - .address_space:  global
        .offset:         56
        .size:           8
        .value_kind:     global_buffer
      - .offset:         64
        .size:           8
        .value_kind:     by_value
      - .address_space:  global
        .offset:         72
        .size:           8
        .value_kind:     global_buffer
      - .offset:         80
        .size:           8
        .value_kind:     by_value
      - .address_space:  global
        .offset:         88
        .size:           8
        .value_kind:     global_buffer
      - .offset:         96
        .size:           8
        .value_kind:     by_value
      - .address_space:  global
        .offset:         104
        .size:           8
        .value_kind:     global_buffer
      - .address_space:  global
        .offset:         112
        .size:           8
        .value_kind:     global_buffer
      - .address_space:  global
        .offset:         120
        .size:           8
        .value_kind:     global_buffer
      - .address_space:  global
        .offset:         128
        .size:           8
        .value_kind:     global_buffer
      - .address_space:  global
        .offset:         136
        .size:           8
        .value_kind:     global_buffer
      - .address_space:  global
        .offset:         144
        .size:           8
        .value_kind:     global_buffer
      - .address_space:  global
        .offset:         152
        .size:           8
        .value_kind:     global_buffer
      - .offset:         160
        .size:           8
        .value_kind:     by_value
      - .offset:         168
        .size:           8
        .value_kind:     by_value
    .group_segment_fixed_size: 6664
    .kernarg_segment_align: 8
    .kernarg_segment_size: 176
    .language:       OpenCL C
    .language_version:
      - 2
      - 0
    .max_flat_workgroup_size: 128
    .name:           _ZN9rocsolver6v33100L22stebz_bisection_kernelIdPdEEv15rocblas_erange_iT_T0_iiS5_iiPiPS4_lS6_lS6_lS6_S6_S7_S7_S7_S7_S6_S4_S4_
    .private_segment_fixed_size: 0
    .sgpr_count:     93
    .sgpr_spill_count: 0
    .symbol:         _ZN9rocsolver6v33100L22stebz_bisection_kernelIdPdEEv15rocblas_erange_iT_T0_iiS5_iiPiPS4_lS6_lS6_lS6_S6_S7_S7_S7_S7_S6_S4_S4_.kd
    .uniform_work_group_size: 1
    .uses_dynamic_stack: false
    .vgpr_count:     39
    .vgpr_spill_count: 0
    .wavefront_size: 32
    .workgroup_processor_mode: 1
  - .args:
      - .offset:         0
        .size:           4
        .value_kind:     by_value
      - .offset:         4
        .size:           4
        .value_kind:     by_value
      - .offset:         8
        .size:           4
        .value_kind:     by_value
      - .offset:         12
        .size:           4
        .value_kind:     by_value
      - .offset:         16
        .size:           4
        .value_kind:     by_value
      - .address_space:  global
        .offset:         24
        .size:           8
        .value_kind:     global_buffer
      - .offset:         32
        .size:           4
        .value_kind:     by_value
      - .offset:         36
        .size:           4
        .value_kind:     by_value
      - .address_space:  global
        .offset:         40
        .size:           8
        .value_kind:     global_buffer
      - .address_space:  global
        .offset:         48
        .size:           8
        .value_kind:     global_buffer
      - .address_space:  global
        .offset:         56
        .size:           8
        .value_kind:     global_buffer
      - .offset:         64
        .size:           8
        .value_kind:     by_value
      - .address_space:  global
        .offset:         72
        .size:           8
        .value_kind:     global_buffer
      - .offset:         80
        .size:           8
        .value_kind:     by_value
      - .address_space:  global
        .offset:         88
        .size:           8
        .value_kind:     global_buffer
      - .offset:         96
        .size:           8
        .value_kind:     by_value
      - .offset:         104
        .size:           4
        .value_kind:     by_value
      - .address_space:  global
        .offset:         112
        .size:           8
        .value_kind:     global_buffer
      - .address_space:  global
        .offset:         120
        .size:           8
        .value_kind:     global_buffer
      - .address_space:  global
        .offset:         128
        .size:           8
        .value_kind:     global_buffer
      - .address_space:  global
        .offset:         136
        .size:           8
        .value_kind:     global_buffer
      - .address_space:  global
        .offset:         144
        .size:           8
        .value_kind:     global_buffer
      - .address_space:  global
        .offset:         152
        .size:           8
        .value_kind:     global_buffer
      - .offset:         160
        .size:           8
        .value_kind:     by_value
      - .offset:         168
        .size:           4
        .value_kind:     hidden_block_count_x
      - .offset:         172
        .size:           4
        .value_kind:     hidden_block_count_y
      - .offset:         176
        .size:           4
        .value_kind:     hidden_block_count_z
      - .offset:         180
        .size:           2
        .value_kind:     hidden_group_size_x
      - .offset:         182
        .size:           2
        .value_kind:     hidden_group_size_y
      - .offset:         184
        .size:           2
        .value_kind:     hidden_group_size_z
      - .offset:         186
        .size:           2
        .value_kind:     hidden_remainder_x
      - .offset:         188
        .size:           2
        .value_kind:     hidden_remainder_y
      - .offset:         190
        .size:           2
        .value_kind:     hidden_remainder_z
      - .offset:         208
        .size:           8
        .value_kind:     hidden_global_offset_x
      - .offset:         216
        .size:           8
        .value_kind:     hidden_global_offset_y
      - .offset:         224
        .size:           8
        .value_kind:     hidden_global_offset_z
      - .offset:         232
        .size:           2
        .value_kind:     hidden_grid_dims
    .group_segment_fixed_size: 0
    .kernarg_segment_align: 8
    .kernarg_segment_size: 424
    .language:       OpenCL C
    .language_version:
      - 2
      - 0
    .max_flat_workgroup_size: 1024
    .name:           _ZN9rocsolver6v33100L22stebz_synthesis_kernelIdPdEEv15rocblas_erange_15rocblas_eorder_iiiT0_iiPiS6_PT_lS6_lS6_liS6_S8_S8_S8_S8_S6_S7_
    .private_segment_fixed_size: 0
    .sgpr_count:     42
    .sgpr_spill_count: 0
    .symbol:         _ZN9rocsolver6v33100L22stebz_synthesis_kernelIdPdEEv15rocblas_erange_15rocblas_eorder_iiiT0_iiPiS6_PT_lS6_lS6_liS6_S8_S8_S8_S8_S6_S7_.kd
    .uniform_work_group_size: 1
    .uses_dynamic_stack: false
    .vgpr_count:     51
    .vgpr_spill_count: 0
    .wavefront_size: 32
    .workgroup_processor_mode: 1
  - .args:
      - .offset:         0
        .size:           4
        .value_kind:     by_value
      - .address_space:  global
        .offset:         8
        .size:           8
        .value_kind:     global_buffer
      - .address_space:  global
        .offset:         16
        .size:           8
        .value_kind:     global_buffer
      - .offset:         24
        .size:           8
        .value_kind:     by_value
      - .address_space:  global
        .offset:         32
        .size:           8
        .value_kind:     global_buffer
      - .offset:         40
        .size:           4
        .value_kind:     hidden_block_count_x
      - .offset:         44
        .size:           4
        .value_kind:     hidden_block_count_y
      - .offset:         48
        .size:           4
        .value_kind:     hidden_block_count_z
      - .offset:         52
        .size:           2
        .value_kind:     hidden_group_size_x
      - .offset:         54
        .size:           2
        .value_kind:     hidden_group_size_y
      - .offset:         56
        .size:           2
        .value_kind:     hidden_group_size_z
      - .offset:         58
        .size:           2
        .value_kind:     hidden_remainder_x
      - .offset:         60
        .size:           2
        .value_kind:     hidden_remainder_y
      - .offset:         62
        .size:           2
        .value_kind:     hidden_remainder_z
      - .offset:         80
        .size:           8
        .value_kind:     hidden_global_offset_x
      - .offset:         88
        .size:           8
        .value_kind:     hidden_global_offset_y
      - .offset:         96
        .size:           8
        .value_kind:     hidden_global_offset_z
      - .offset:         104
        .size:           2
        .value_kind:     hidden_grid_dims
    .group_segment_fixed_size: 0
    .kernarg_segment_align: 8
    .kernarg_segment_size: 296
    .language:       OpenCL C
    .language_version:
      - 2
      - 0
    .max_flat_workgroup_size: 1024
    .name:           _ZN9rocsolver6v33100L15bdsvdx_abs_eigsIdEEviPiPT_lS4_
    .private_segment_fixed_size: 0
    .sgpr_count:     18
    .sgpr_spill_count: 0
    .symbol:         _ZN9rocsolver6v33100L15bdsvdx_abs_eigsIdEEviPiPT_lS4_.kd
    .uniform_work_group_size: 1
    .uses_dynamic_stack: false
    .vgpr_count:     4
    .vgpr_spill_count: 0
    .wavefront_size: 32
    .workgroup_processor_mode: 1
  - .args:
      - .offset:         0
        .size:           4
        .value_kind:     by_value
      - .address_space:  global
        .offset:         8
        .size:           8
        .value_kind:     global_buffer
      - .offset:         16
        .size:           8
        .value_kind:     by_value
      - .address_space:  global
        .offset:         24
        .size:           8
        .value_kind:     global_buffer
      - .offset:         32
        .size:           8
        .value_kind:     by_value
      - .address_space:  global
        .offset:         40
        .size:           8
        .value_kind:     global_buffer
      - .address_space:  global
        .offset:         48
        .size:           8
        .value_kind:     global_buffer
      - .offset:         56
        .size:           8
        .value_kind:     by_value
      - .address_space:  global
        .offset:         64
        .size:           8
        .value_kind:     global_buffer
      - .offset:         72
        .size:           8
        .value_kind:     by_value
      - .address_space:  global
        .offset:         80
        .size:           8
        .value_kind:     global_buffer
      - .offset:         88
        .size:           8
        .value_kind:     by_value
      - .address_space:  global
        .offset:         96
        .size:           8
        .value_kind:     global_buffer
      - .offset:         104
        .size:           4
        .value_kind:     by_value
      - .offset:         108
        .size:           4
        .value_kind:     by_value
      - .offset:         112
        .size:           8
        .value_kind:     by_value
      - .address_space:  global
        .offset:         120
        .size:           8
        .value_kind:     global_buffer
      - .offset:         128
        .size:           8
        .value_kind:     by_value
      - .address_space:  global
        .offset:         136
        .size:           8
        .value_kind:     global_buffer
      - .address_space:  global
        .offset:         144
        .size:           8
        .value_kind:     global_buffer
      - .address_space:  global
        .offset:         152
        .size:           8
        .value_kind:     global_buffer
      - .offset:         160
        .size:           8
        .value_kind:     by_value
      - .offset:         168
        .size:           8
        .value_kind:     by_value
    .group_segment_fixed_size: 8
    .kernarg_segment_align: 8
    .kernarg_segment_size: 176
    .language:       OpenCL C
    .language_version:
      - 2
      - 0
    .max_flat_workgroup_size: 256
    .name:           _ZN9rocsolver6v33100L12stein_kernelIddPdEEviPT0_lS4_lPiS4_lS5_lS5_lT1_iilS5_lS5_S4_S5_S3_S3_
    .private_segment_fixed_size: 0
    .sgpr_count:     107
    .sgpr_spill_count: 16
    .symbol:         _ZN9rocsolver6v33100L12stein_kernelIddPdEEviPT0_lS4_lPiS4_lS5_lS5_lT1_iilS5_lS5_S4_S5_S3_S3_.kd
    .uniform_work_group_size: 1
    .uses_dynamic_stack: false
    .vgpr_count:     59
    .vgpr_spill_count: 0
    .wavefront_size: 32
    .workgroup_processor_mode: 1
  - .args:
      - .offset:         0
        .size:           4
        .value_kind:     by_value
      - .address_space:  global
        .offset:         8
        .size:           8
        .value_kind:     global_buffer
      - .address_space:  global
        .offset:         16
        .size:           8
        .value_kind:     global_buffer
      - .offset:         24
        .size:           8
        .value_kind:     by_value
      - .address_space:  global
        .offset:         32
        .size:           8
        .value_kind:     global_buffer
      - .offset:         40
        .size:           4
        .value_kind:     by_value
      - .offset:         44
        .size:           4
        .value_kind:     by_value
      - .offset:         48
        .size:           8
        .value_kind:     by_value
      - .address_space:  global
        .offset:         56
        .size:           8
        .value_kind:     global_buffer
      - .offset:         64
        .size:           8
        .value_kind:     by_value
      - .address_space:  global
        .offset:         72
        .size:           8
        .value_kind:     global_buffer
      - .address_space:  global
        .offset:         80
        .size:           8
        .value_kind:     global_buffer
      - .offset:         88
        .size:           4
        .value_kind:     hidden_block_count_x
      - .offset:         92
        .size:           4
        .value_kind:     hidden_block_count_y
      - .offset:         96
        .size:           4
        .value_kind:     hidden_block_count_z
      - .offset:         100
        .size:           2
        .value_kind:     hidden_group_size_x
      - .offset:         102
        .size:           2
        .value_kind:     hidden_group_size_y
      - .offset:         104
        .size:           2
        .value_kind:     hidden_group_size_z
      - .offset:         106
        .size:           2
        .value_kind:     hidden_remainder_x
      - .offset:         108
        .size:           2
        .value_kind:     hidden_remainder_y
      - .offset:         110
        .size:           2
        .value_kind:     hidden_remainder_z
      - .offset:         128
        .size:           8
        .value_kind:     hidden_global_offset_x
      - .offset:         136
        .size:           8
        .value_kind:     hidden_global_offset_y
      - .offset:         144
        .size:           8
        .value_kind:     hidden_global_offset_z
      - .offset:         152
        .size:           2
        .value_kind:     hidden_grid_dims
      - .offset:         168
        .size:           8
        .value_kind:     hidden_hostcall_buffer
    .group_segment_fixed_size: 0
    .kernarg_segment_align: 8
    .kernarg_segment_size: 344
    .language:       OpenCL C
    .language_version:
      - 2
      - 0
    .max_flat_workgroup_size: 256
    .name:           _ZN9rocsolver6v33100L15syevx_sort_eigsIddPdEEviPiPT0_lT1_iilS3_lS3_S3_
    .private_segment_fixed_size: 64
    .sgpr_count:     54
    .sgpr_spill_count: 0
    .symbol:         _ZN9rocsolver6v33100L15syevx_sort_eigsIddPdEEviPiPT0_lT1_iilS3_lS3_S3_.kd
    .uniform_work_group_size: 1
    .uses_dynamic_stack: false
    .vgpr_count:     52
    .vgpr_spill_count: 0
    .wavefront_size: 32
    .workgroup_processor_mode: 1
  - .args:
      - .offset:         0
        .size:           4
        .value_kind:     by_value
      - .offset:         4
        .size:           4
        .value_kind:     by_value
      - .address_space:  global
        .offset:         8
        .size:           8
        .value_kind:     global_buffer
      - .address_space:  global
        .offset:         16
        .size:           8
        .value_kind:     global_buffer
      - .offset:         24
        .size:           8
        .value_kind:     by_value
      - .address_space:  global
        .offset:         32
        .size:           8
        .value_kind:     global_buffer
      - .offset:         40
        .size:           4
        .value_kind:     by_value
      - .offset:         44
        .size:           4
        .value_kind:     by_value
      - .offset:         48
        .size:           8
        .value_kind:     by_value
      - .address_space:  global
        .offset:         56
        .size:           8
        .value_kind:     global_buffer
      - .offset:         64
        .size:           4
        .value_kind:     hidden_block_count_x
      - .offset:         68
        .size:           4
        .value_kind:     hidden_block_count_y
      - .offset:         72
        .size:           4
        .value_kind:     hidden_block_count_z
      - .offset:         76
        .size:           2
        .value_kind:     hidden_group_size_x
      - .offset:         78
        .size:           2
        .value_kind:     hidden_group_size_y
      - .offset:         80
        .size:           2
        .value_kind:     hidden_group_size_z
      - .offset:         82
        .size:           2
        .value_kind:     hidden_remainder_x
      - .offset:         84
        .size:           2
        .value_kind:     hidden_remainder_y
      - .offset:         86
        .size:           2
        .value_kind:     hidden_remainder_z
      - .offset:         104
        .size:           8
        .value_kind:     hidden_global_offset_x
      - .offset:         112
        .size:           8
        .value_kind:     hidden_global_offset_y
      - .offset:         120
        .size:           8
        .value_kind:     hidden_global_offset_z
      - .offset:         128
        .size:           2
        .value_kind:     hidden_grid_dims
    .group_segment_fixed_size: 0
    .kernarg_segment_align: 8
    .kernarg_segment_size: 320
    .language:       OpenCL C
    .language_version:
      - 2
      - 0
    .max_flat_workgroup_size: 1024
    .name:           _ZN9rocsolver6v33100L19bdsvdx_reorder_vectIdPdEEv13rocblas_fill_iPiPT_lT0_iilS6_
    .private_segment_fixed_size: 0
    .sgpr_count:     27
    .sgpr_spill_count: 0
    .symbol:         _ZN9rocsolver6v33100L19bdsvdx_reorder_vectIdPdEEv13rocblas_fill_iPiPT_lT0_iilS6_.kd
    .uniform_work_group_size: 1
    .uses_dynamic_stack: false
    .vgpr_count:     11
    .vgpr_spill_count: 0
    .wavefront_size: 32
    .workgroup_processor_mode: 1
amdhsa.target:   amdgcn-amd-amdhsa--gfx1030
amdhsa.version:
  - 1
  - 2
...

	.end_amdgpu_metadata
